;; amdgpu-corpus repo=ROCm/rocFFT kind=compiled arch=gfx906 opt=O3
	.text
	.amdgcn_target "amdgcn-amd-amdhsa--gfx906"
	.amdhsa_code_object_version 6
	.protected	bluestein_single_fwd_len550_dim1_half_op_CI_CI ; -- Begin function bluestein_single_fwd_len550_dim1_half_op_CI_CI
	.globl	bluestein_single_fwd_len550_dim1_half_op_CI_CI
	.p2align	8
	.type	bluestein_single_fwd_len550_dim1_half_op_CI_CI,@function
bluestein_single_fwd_len550_dim1_half_op_CI_CI: ; @bluestein_single_fwd_len550_dim1_half_op_CI_CI
; %bb.0:
	s_load_dwordx4 s[0:3], s[4:5], 0x28
	v_mul_u32_u24_e32 v1, 0x4a8, v0
	v_add_u32_sdwa v16, s6, v1 dst_sel:DWORD dst_unused:UNUSED_PAD src0_sel:DWORD src1_sel:WORD_1
	v_mov_b32_e32 v17, 0
	s_waitcnt lgkmcnt(0)
	v_cmp_gt_u64_e32 vcc, s[0:1], v[16:17]
	s_and_saveexec_b64 s[0:1], vcc
	s_cbranch_execz .LBB0_15
; %bb.1:
	s_load_dwordx2 s[6:7], s[4:5], 0x0
	s_load_dwordx2 s[12:13], s[4:5], 0x38
	v_mov_b32_e32 v2, 55
	v_mul_lo_u16_sdwa v1, v1, v2 dst_sel:DWORD dst_unused:UNUSED_PAD src0_sel:WORD_1 src1_sel:DWORD
	v_sub_u16_e32 v28, v0, v1
	v_cmp_gt_u16_e32 vcc, 50, v28
	v_lshlrev_b32_e32 v27, 2, v28
	s_and_saveexec_b64 s[8:9], vcc
	s_cbranch_execz .LBB0_3
; %bb.2:
	s_load_dwordx2 s[0:1], s[4:5], 0x18
	s_waitcnt lgkmcnt(0)
	s_load_dwordx4 s[16:19], s[0:1], 0x0
	s_waitcnt lgkmcnt(0)
	v_mad_u64_u32 v[0:1], s[0:1], s18, v16, 0
	v_mad_u64_u32 v[2:3], s[0:1], s16, v28, 0
	;; [unrolled: 1-line block ×4, first 2 shown]
	v_mov_b32_e32 v1, v4
	v_lshlrev_b64 v[0:1], 2, v[0:1]
	v_mov_b32_e32 v3, v5
	v_mov_b32_e32 v6, s3
	v_lshlrev_b64 v[2:3], 2, v[2:3]
	v_add_co_u32_e64 v0, s[0:1], s2, v0
	v_addc_co_u32_e64 v1, s[0:1], v6, v1, s[0:1]
	v_add_co_u32_e64 v0, s[0:1], v0, v2
	v_addc_co_u32_e64 v1, s[0:1], v1, v3, s[0:1]
	s_mul_i32 s0, s17, 0xc8
	s_mul_hi_u32 s1, s16, 0xc8
	global_load_dword v2, v[0:1], off
	s_add_i32 s2, s1, s0
	s_mul_i32 s3, s16, 0xc8
	global_load_dword v4, v27, s[6:7]
	v_mov_b32_e32 v3, s2
	v_add_co_u32_e64 v0, s[0:1], s3, v0
	v_addc_co_u32_e64 v1, s[0:1], v1, v3, s[0:1]
	global_load_dword v3, v27, s[6:7] offset:200
	global_load_dword v5, v[0:1], off
	v_mov_b32_e32 v6, s2
	v_add_co_u32_e64 v0, s[0:1], s3, v0
	v_addc_co_u32_e64 v1, s[0:1], v1, v6, s[0:1]
	global_load_dword v6, v[0:1], off
	v_mov_b32_e32 v7, s2
	global_load_dword v8, v27, s[6:7] offset:400
	v_add_co_u32_e64 v0, s[0:1], s3, v0
	v_addc_co_u32_e64 v1, s[0:1], v1, v7, s[0:1]
	global_load_dword v7, v27, s[6:7] offset:600
	global_load_dword v12, v27, s[6:7] offset:800
	global_load_dword v10, v[0:1], off
	v_mov_b32_e32 v9, s2
	v_add_co_u32_e64 v0, s[0:1], s3, v0
	v_addc_co_u32_e64 v1, s[0:1], v1, v9, s[0:1]
	global_load_dword v9, v[0:1], off
	v_mov_b32_e32 v11, s2
	v_add_co_u32_e64 v0, s[0:1], s3, v0
	v_addc_co_u32_e64 v1, s[0:1], v1, v11, s[0:1]
	global_load_dword v11, v[0:1], off
	global_load_dword v13, v27, s[6:7] offset:1000
	v_mov_b32_e32 v14, s2
	v_add_co_u32_e64 v0, s[0:1], s3, v0
	v_addc_co_u32_e64 v1, s[0:1], v1, v14, s[0:1]
	global_load_dword v14, v[0:1], off
	global_load_dword v17, v27, s[6:7] offset:1200
	;; [unrolled: 5-line block ×6, first 2 shown]
	s_waitcnt vmcnt(21)
	v_lshrrev_b32_e32 v0, 16, v2
	s_waitcnt vmcnt(20)
	v_mul_f16_sdwa v1, v4, v2 dst_sel:DWORD dst_unused:UNUSED_PAD src0_sel:WORD_1 src1_sel:DWORD
	v_fma_f16 v1, v4, v0, -v1
	v_mul_f16_sdwa v0, v4, v0 dst_sel:DWORD dst_unused:UNUSED_PAD src0_sel:WORD_1 src1_sel:DWORD
	v_fma_f16 v0, v4, v2, v0
	v_pack_b32_f16 v0, v0, v1
	s_waitcnt vmcnt(18)
	v_lshrrev_b32_e32 v25, 16, v5
	v_mul_f16_sdwa v1, v3, v25 dst_sel:DWORD dst_unused:UNUSED_PAD src0_sel:WORD_1 src1_sel:DWORD
	v_mul_f16_sdwa v2, v3, v5 dst_sel:DWORD dst_unused:UNUSED_PAD src0_sel:WORD_1 src1_sel:DWORD
	v_fma_f16 v1, v3, v5, v1
	v_fma_f16 v2, v3, v25, -v2
	v_pack_b32_f16 v1, v1, v2
	ds_write2_b32 v27, v0, v1 offset1:50
	s_waitcnt vmcnt(17)
	v_lshrrev_b32_e32 v0, 16, v6
	s_waitcnt vmcnt(16)
	v_mul_f16_sdwa v1, v8, v0 dst_sel:DWORD dst_unused:UNUSED_PAD src0_sel:WORD_1 src1_sel:DWORD
	v_mul_f16_sdwa v2, v8, v6 dst_sel:DWORD dst_unused:UNUSED_PAD src0_sel:WORD_1 src1_sel:DWORD
	v_fma_f16 v1, v8, v6, v1
	v_fma_f16 v0, v8, v0, -v2
	v_pack_b32_f16 v0, v1, v0
	s_waitcnt vmcnt(13)
	v_lshrrev_b32_e32 v1, 16, v10
	v_mul_f16_sdwa v2, v7, v1 dst_sel:DWORD dst_unused:UNUSED_PAD src0_sel:WORD_1 src1_sel:DWORD
	v_mul_f16_sdwa v3, v7, v10 dst_sel:DWORD dst_unused:UNUSED_PAD src0_sel:WORD_1 src1_sel:DWORD
	v_fma_f16 v2, v7, v10, v2
	v_fma_f16 v1, v7, v1, -v3
	v_pack_b32_f16 v1, v2, v1
	ds_write2_b32 v27, v0, v1 offset0:100 offset1:150
	s_waitcnt vmcnt(12)
	v_lshrrev_b32_e32 v0, 16, v9
	v_mul_f16_sdwa v1, v12, v0 dst_sel:DWORD dst_unused:UNUSED_PAD src0_sel:WORD_1 src1_sel:DWORD
	v_mul_f16_sdwa v2, v12, v9 dst_sel:DWORD dst_unused:UNUSED_PAD src0_sel:WORD_1 src1_sel:DWORD
	v_fma_f16 v1, v12, v9, v1
	v_fma_f16 v0, v12, v0, -v2
	v_pack_b32_f16 v0, v1, v0
	s_waitcnt vmcnt(11)
	v_lshrrev_b32_e32 v1, 16, v11
	s_waitcnt vmcnt(10)
	v_mul_f16_sdwa v2, v13, v1 dst_sel:DWORD dst_unused:UNUSED_PAD src0_sel:WORD_1 src1_sel:DWORD
	v_mul_f16_sdwa v3, v13, v11 dst_sel:DWORD dst_unused:UNUSED_PAD src0_sel:WORD_1 src1_sel:DWORD
	v_fma_f16 v2, v13, v11, v2
	v_fma_f16 v1, v13, v1, -v3
	v_pack_b32_f16 v1, v2, v1
	ds_write2_b32 v27, v0, v1 offset0:200 offset1:250
	s_waitcnt vmcnt(9)
	v_lshrrev_b32_e32 v0, 16, v14
	s_waitcnt vmcnt(8)
	v_mul_f16_sdwa v1, v17, v0 dst_sel:DWORD dst_unused:UNUSED_PAD src0_sel:WORD_1 src1_sel:DWORD
	v_mul_f16_sdwa v2, v17, v14 dst_sel:DWORD dst_unused:UNUSED_PAD src0_sel:WORD_1 src1_sel:DWORD
	v_fma_f16 v1, v17, v14, v1
	v_fma_f16 v0, v17, v0, -v2
	v_pack_b32_f16 v0, v1, v0
	s_waitcnt vmcnt(7)
	v_lshrrev_b32_e32 v1, 16, v15
	s_waitcnt vmcnt(6)
	v_mul_f16_sdwa v2, v18, v1 dst_sel:DWORD dst_unused:UNUSED_PAD src0_sel:WORD_1 src1_sel:DWORD
	v_mul_f16_sdwa v3, v18, v15 dst_sel:DWORD dst_unused:UNUSED_PAD src0_sel:WORD_1 src1_sel:DWORD
	v_fma_f16 v2, v18, v15, v2
	v_fma_f16 v1, v18, v1, -v3
	v_pack_b32_f16 v1, v2, v1
	v_add_u32_e32 v2, 0x400, v27
	ds_write2_b32 v2, v0, v1 offset0:44 offset1:94
	s_waitcnt vmcnt(5)
	v_lshrrev_b32_e32 v0, 16, v19
	s_waitcnt vmcnt(4)
	v_mul_f16_sdwa v1, v20, v0 dst_sel:DWORD dst_unused:UNUSED_PAD src0_sel:WORD_1 src1_sel:DWORD
	v_mul_f16_sdwa v3, v20, v19 dst_sel:DWORD dst_unused:UNUSED_PAD src0_sel:WORD_1 src1_sel:DWORD
	v_fma_f16 v1, v20, v19, v1
	v_fma_f16 v0, v20, v0, -v3
	v_pack_b32_f16 v0, v1, v0
	s_waitcnt vmcnt(3)
	v_lshrrev_b32_e32 v1, 16, v21
	s_waitcnt vmcnt(2)
	v_mul_f16_sdwa v3, v22, v1 dst_sel:DWORD dst_unused:UNUSED_PAD src0_sel:WORD_1 src1_sel:DWORD
	v_mul_f16_sdwa v4, v22, v21 dst_sel:DWORD dst_unused:UNUSED_PAD src0_sel:WORD_1 src1_sel:DWORD
	v_fma_f16 v3, v22, v21, v3
	v_fma_f16 v1, v22, v1, -v4
	v_pack_b32_f16 v1, v3, v1
	ds_write2_b32 v2, v0, v1 offset0:144 offset1:194
	s_waitcnt vmcnt(1)
	v_lshrrev_b32_e32 v0, 16, v23
	s_waitcnt vmcnt(0)
	v_mul_f16_sdwa v1, v24, v0 dst_sel:DWORD dst_unused:UNUSED_PAD src0_sel:WORD_1 src1_sel:DWORD
	v_mul_f16_sdwa v2, v24, v23 dst_sel:DWORD dst_unused:UNUSED_PAD src0_sel:WORD_1 src1_sel:DWORD
	v_fma_f16 v1, v24, v23, v1
	v_fma_f16 v0, v24, v0, -v2
	v_pack_b32_f16 v0, v1, v0
	ds_write_b32 v27, v0 offset:2000
.LBB0_3:
	s_or_b64 exec, exec, s[8:9]
	s_load_dwordx2 s[2:3], s[4:5], 0x20
	s_load_dwordx2 s[0:1], s[4:5], 0x8
	v_mov_b32_e32 v0, 0
	s_waitcnt lgkmcnt(0)
	; wave barrier
	s_waitcnt lgkmcnt(0)
                                        ; implicit-def: $vgpr11
                                        ; implicit-def: $vgpr3
                                        ; implicit-def: $vgpr5
                                        ; implicit-def: $vgpr7
                                        ; implicit-def: $vgpr9
	s_and_saveexec_b64 s[4:5], vcc
	s_cbranch_execz .LBB0_5
; %bb.4:
	v_add_u32_e32 v2, 0x400, v27
	ds_read2_b32 v[0:1], v27 offset1:50
	ds_read2_b32 v[8:9], v27 offset0:100 offset1:150
	ds_read2_b32 v[6:7], v27 offset0:200 offset1:250
	;; [unrolled: 1-line block ×4, first 2 shown]
	ds_read_b32 v11, v27 offset:2000
.LBB0_5:
	s_or_b64 exec, exec, s[4:5]
	s_waitcnt lgkmcnt(0)
	v_pk_add_f16 v10, v1, v11 neg_lo:[0,1] neg_hi:[0,1]
	s_mov_b32 s19, 0xb853
	v_pk_add_f16 v14, v11, v1
	s_movk_i32 s9, 0x3abb
	v_mul_f16_sdwa v25, v10, s19 dst_sel:DWORD dst_unused:UNUSED_PAD src0_sel:WORD_1 src1_sel:DWORD
	v_lshrrev_b32_e32 v22, 16, v14
	v_mul_f16_e32 v35, 0xb853, v10
	v_fma_f16 v12, v14, s9, v25
	v_add_f16_e32 v13, v12, v0
	v_fma_f16 v12, v22, s9, -v35
	v_add_f16_sdwa v17, v12, v0 dst_sel:DWORD dst_unused:UNUSED_PAD src0_sel:DWORD src1_sel:WORD_1
	v_pk_add_f16 v12, v8, v3 neg_lo:[0,1] neg_hi:[0,1]
	s_mov_b32 s18, 0xbb47
	v_pk_add_f16 v15, v3, v8
	s_movk_i32 s10, 0x36a6
	v_mul_f16_sdwa v32, v12, s18 dst_sel:DWORD dst_unused:UNUSED_PAD src0_sel:WORD_1 src1_sel:DWORD
	v_lshrrev_b32_e32 v23, 16, v15
	v_mul_f16_e32 v36, 0xbb47, v12
	v_fma_f16 v18, v15, s10, v32
	v_add_f16_e32 v19, v18, v13
	v_fma_f16 v13, v23, s10, -v36
	v_add_f16_e32 v17, v13, v17
	v_pk_add_f16 v13, v9, v2 neg_lo:[0,1] neg_hi:[0,1]
	s_mov_b32 s8, 0xbbeb
	v_pk_add_f16 v18, v2, v9
	s_mov_b32 s11, 0xb08e
	v_mul_f16_sdwa v34, v13, s8 dst_sel:DWORD dst_unused:UNUSED_PAD src0_sel:WORD_1 src1_sel:DWORD
	v_fma_f16 v20, v18, s11, v34
	v_lshrrev_b32_e32 v24, 16, v18
	v_mul_f16_e32 v38, 0xbbeb, v13
	v_add_f16_e32 v19, v20, v19
	v_fma_f16 v20, v24, s11, -v38
	v_add_f16_e32 v21, v20, v17
	s_mov_b32 s14, 0xba0c
	v_pk_add_f16 v17, v6, v5 neg_lo:[0,1] neg_hi:[0,1]
	s_mov_b32 s16, 0xb93d
	v_pk_add_f16 v20, v5, v6
	v_mul_f16_sdwa v37, v17, s14 dst_sel:DWORD dst_unused:UNUSED_PAD src0_sel:WORD_1 src1_sel:DWORD
	v_fma_f16 v26, v20, s16, v37
	v_add_f16_e32 v29, v26, v19
	v_lshrrev_b32_e32 v26, 16, v20
	v_mul_f16_e32 v40, 0xba0c, v17
	v_fma_f16 v19, v26, s16, -v40
	v_add_f16_e32 v30, v19, v21
	s_mov_b32 s15, 0xb482
	v_pk_add_f16 v19, v7, v4 neg_lo:[0,1] neg_hi:[0,1]
	s_mov_b32 s17, 0xbbad
	v_pk_add_f16 v21, v4, v7
	v_mul_f16_sdwa v39, v19, s15 dst_sel:DWORD dst_unused:UNUSED_PAD src0_sel:WORD_1 src1_sel:DWORD
	v_fma_f16 v31, v21, s17, v39
	v_lshrrev_b32_e32 v33, 16, v21
	v_mul_f16_e32 v41, 0xb482, v19
	v_add_f16_e32 v31, v31, v29
	v_fma_f16 v29, v33, s17, -v41
	v_add_f16_e32 v30, v29, v30
	v_mul_lo_u16_e32 v29, 11, v28
	s_waitcnt lgkmcnt(0)
	; wave barrier
	s_and_saveexec_b64 s[4:5], vcc
	s_cbranch_execz .LBB0_7
; %bb.6:
	v_mul_f16_e32 v42, 0xba0c, v10
	v_fma_f16 v43, v22, s16, v42
	v_mul_f16_e32 v44, 0x3beb, v12
	v_add_f16_sdwa v43, v43, v0 dst_sel:DWORD dst_unused:UNUSED_PAD src0_sel:DWORD src1_sel:WORD_1
	v_fma_f16 v45, v23, s11, v44
	v_add_f16_e32 v43, v45, v43
	v_mul_f16_e32 v45, 0xb853, v13
	v_pk_add_f16 v1, v1, v0
	v_fma_f16 v46, v24, s9, v45
	v_pk_add_f16 v1, v8, v1
	v_mul_f16_e32 v8, 0xb482, v17
	v_add_f16_e32 v43, v46, v43
	v_pk_add_f16 v1, v9, v1
	v_fma_f16 v9, v26, s17, v8
	v_add_f16_e32 v9, v9, v43
	s_movk_i32 s20, 0x3b47
	v_mul_f16_e32 v43, 0x36a6, v33
	v_fma_f16 v46, v19, s20, v43
	v_add_f16_e32 v9, v46, v9
	s_movk_i32 s21, 0x3beb
	v_mul_f16_sdwa v46, v10, s14 dst_sel:DWORD dst_unused:UNUSED_PAD src0_sel:WORD_1 src1_sel:DWORD
	v_fma_f16 v47, v14, s16, -v46
	v_mul_f16_sdwa v48, v12, s21 dst_sel:DWORD dst_unused:UNUSED_PAD src0_sel:WORD_1 src1_sel:DWORD
	v_add_f16_e32 v47, v47, v0
	v_fma_f16 v49, v15, s11, -v48
	v_add_f16_e32 v47, v49, v47
	v_mul_f16_sdwa v49, v13, s19 dst_sel:DWORD dst_unused:UNUSED_PAD src0_sel:WORD_1 src1_sel:DWORD
	v_fma_f16 v50, v18, s9, -v49
	v_add_f16_e32 v47, v50, v47
	v_mul_f16_sdwa v50, v17, s15 dst_sel:DWORD dst_unused:UNUSED_PAD src0_sel:WORD_1 src1_sel:DWORD
	v_fma_f16 v51, v20, s17, -v50
	v_add_f16_e32 v47, v51, v47
	v_mul_f16_sdwa v51, v19, s20 dst_sel:DWORD dst_unused:UNUSED_PAD src0_sel:WORD_1 src1_sel:DWORD
	v_fma_f16 v52, v21, s10, -v51
	v_add_f16_e32 v47, v52, v47
	v_mul_f16_e32 v52, 0xbbeb, v10
	v_fma_f16 v53, v22, s11, v52
	v_mul_f16_e32 v54, 0x3482, v12
	v_add_f16_sdwa v53, v53, v0 dst_sel:DWORD dst_unused:UNUSED_PAD src0_sel:DWORD src1_sel:WORD_1
	v_fma_f16 v55, v23, s17, v54
	v_add_f16_e32 v53, v55, v53
	v_mul_f16_e32 v55, 0x3b47, v13
	v_fma_f16 v56, v24, s10, v55
	v_add_f16_e32 v53, v56, v53
	v_mul_f16_e32 v56, 0xb853, v17
	;; [unrolled: 3-line block ×3, first 2 shown]
	v_fma_f16 v58, v33, s16, v57
	v_add_f16_e32 v53, v58, v53
	v_mul_f16_sdwa v58, v10, s18 dst_sel:DWORD dst_unused:UNUSED_PAD src0_sel:WORD_1 src1_sel:DWORD
	v_fma_f16 v59, v14, s10, -v58
	v_mul_f16_sdwa v60, v12, s14 dst_sel:DWORD dst_unused:UNUSED_PAD src0_sel:WORD_1 src1_sel:DWORD
	v_add_f16_e32 v59, v59, v0
	v_fma_f16 v61, v15, s16, -v60
	s_movk_i32 s18, 0x3482
	v_add_f16_e32 v59, v61, v59
	v_mul_f16_sdwa v61, v13, s18 dst_sel:DWORD dst_unused:UNUSED_PAD src0_sel:WORD_1 src1_sel:DWORD
	v_fma_f16 v62, v18, s17, -v61
	v_add_f16_e32 v59, v62, v59
	v_mul_f16_sdwa v62, v17, s21 dst_sel:DWORD dst_unused:UNUSED_PAD src0_sel:WORD_1 src1_sel:DWORD
	v_fma_f16 v63, v20, s11, -v62
	s_movk_i32 s18, 0x3853
	v_add_f16_e32 v59, v63, v59
	v_mul_f16_sdwa v63, v19, s18 dst_sel:DWORD dst_unused:UNUSED_PAD src0_sel:WORD_1 src1_sel:DWORD
	v_fma_f16 v64, v21, s9, -v63
	v_add_f16_e32 v59, v64, v59
	v_mul_f16_e32 v64, 0x3abb, v22
	v_add_f16_e32 v35, v35, v64
	v_mul_f16_e32 v64, 0x36a6, v23
	v_add_f16_e32 v36, v36, v64
	v_add_f16_sdwa v35, v35, v0 dst_sel:DWORD dst_unused:UNUSED_PAD src0_sel:DWORD src1_sel:WORD_1
	v_add_f16_e32 v35, v36, v35
	v_mul_f16_e32 v36, 0xb08e, v24
	v_add_f16_e32 v36, v38, v36
	v_add_f16_e32 v35, v36, v35
	v_mul_f16_e32 v36, 0xb93d, v26
	v_add_f16_e32 v36, v40, v36
	;; [unrolled: 3-line block ×3, first 2 shown]
	v_add_f16_e32 v35, v36, v35
	v_mul_f16_e32 v36, 0x3abb, v14
	v_sub_f16_e32 v25, v36, v25
	v_mul_f16_e32 v36, 0x36a6, v15
	v_sub_f16_e32 v32, v36, v32
	v_add_f16_e32 v25, v25, v0
	v_add_f16_e32 v25, v32, v25
	v_mul_f16_e32 v32, 0xb08e, v18
	v_sub_f16_e32 v32, v32, v34
	v_add_f16_e32 v25, v32, v25
	v_mul_f16_e32 v32, 0xb93d, v20
	v_sub_f16_e32 v32, v32, v37
	;; [unrolled: 3-line block ×3, first 2 shown]
	v_add_f16_e32 v25, v32, v25
	v_fma_f16 v32, v22, s16, -v42
	v_add_f16_sdwa v32, v32, v0 dst_sel:DWORD dst_unused:UNUSED_PAD src0_sel:DWORD src1_sel:WORD_1
	v_fma_f16 v34, v23, s11, -v44
	v_pk_add_f16 v1, v6, v1
	v_add_f16_e32 v32, v34, v32
	v_fma_f16 v34, v24, s9, -v45
	v_pk_add_f16 v1, v7, v1
	v_add_f16_e32 v32, v34, v32
	v_fma_f16 v34, v14, s16, v46
	v_fma_f16 v22, v22, s11, -v52
	v_pk_add_f16 v1, v4, v1
	v_add_f16_e32 v34, v34, v0
	v_fma_f16 v36, v15, s11, v48
	v_fma_f16 v23, v23, s17, -v54
	v_add_f16_sdwa v22, v22, v0 dst_sel:DWORD dst_unused:UNUSED_PAD src0_sel:DWORD src1_sel:WORD_1
	v_pk_add_f16 v1, v5, v1
	v_add_f16_e32 v34, v36, v34
	v_fma_f16 v36, v18, s9, v49
	v_add_f16_e32 v22, v23, v22
	v_fma_f16 v23, v24, s10, -v55
	s_mov_b32 s19, 0x36a6b08e
	v_pk_add_f16 v1, v2, v1
	v_add_f16_e32 v34, v36, v34
	v_fma_f16 v36, v20, s17, v50
	v_add_f16_e32 v22, v23, v22
	v_fma_f16 v8, v26, s17, -v8
	v_fma_f16 v24, v26, s9, -v56
	v_pk_mul_f16 v26, v14, s19
	s_mov_b32 s19, 0xbbebbb47
	s_mov_b32 s21, 0xb93dbbad
	v_pk_add_f16 v1, v3, v1
	v_add_f16_e32 v34, v36, v34
	v_fma_f16 v36, v21, s10, v51
	v_add_f16_e32 v22, v24, v22
	v_pk_mul_f16 v24, v15, s21
	s_mov_b32 s21, 0x3482ba0c
	s_mov_b32 s22, 0xbbad36a6
	v_pk_fma_f16 v6, v10, s19, v26 op_sel:[0,0,1] op_sel_hi:[1,1,0]
	v_pk_fma_f16 v26, v10, s19, v26 op_sel:[0,0,1] op_sel_hi:[1,1,0] neg_lo:[1,0,0] neg_hi:[1,0,0]
	v_pk_add_f16 v1, v11, v1
	v_lshlrev_b32_e32 v11, 2, v29
	v_pack_b32_f16 v25, v25, v35
	s_mov_b32 s19, 0xffff
	v_add_f16_e32 v34, v36, v34
	v_fma_f16 v33, v33, s16, -v57
	v_pk_mul_f16 v36, v18, s22
	s_mov_b32 s22, 0x3b473482
	s_mov_b32 s23, 0xb08e3abb
	v_pk_fma_f16 v4, v12, s21, v24 op_sel:[0,0,1] op_sel_hi:[1,1,0]
	v_fma_f16 v37, v14, s10, v58
	v_pk_fma_f16 v24, v12, s21, v24 op_sel:[0,0,1] op_sel_hi:[1,1,0] neg_lo:[1,0,0] neg_hi:[1,0,0]
	ds_write2_b32 v11, v1, v25 offset1:1
	v_bfi_b32 v1, s19, v6, v26
	v_add_f16_e32 v22, v33, v22
	v_pk_mul_f16 v33, v20, s23
	s_mov_b32 s23, 0xb8533beb
	v_alignbit_b32 v7, s0, v6, 16
	v_alignbit_b32 v5, s0, v4, 16
	v_pk_fma_f16 v2, v13, s22, v36 op_sel:[0,0,1] op_sel_hi:[1,1,0]
	v_add_f16_e32 v37, v37, v0
	v_fma_f16 v38, v15, s16, v60
	v_pk_fma_f16 v36, v13, s22, v36 op_sel:[0,0,1] op_sel_hi:[1,1,0] neg_lo:[1,0,0] neg_hi:[1,0,0]
	v_pk_add_f16 v1, v1, v0 op_sel:[0,1] op_sel_hi:[1,0]
	v_bfi_b32 v4, s19, v4, v24
	s_mov_b32 s24, 0x3abbb93d
	v_pk_add_f16 v7, v7, v0
	v_alignbit_b32 v3, s0, v2, 16
	v_add_f16_e32 v37, v38, v37
	v_pk_fma_f16 v38, v17, s23, v33 op_sel:[0,0,1] op_sel_hi:[1,1,0]
	v_fma_f16 v39, v18, s17, v61
	v_pk_fma_f16 v33, v17, s23, v33 op_sel:[0,0,1] op_sel_hi:[1,1,0] neg_lo:[1,0,0] neg_hi:[1,0,0]
	v_pk_add_f16 v1, v4, v1
	v_bfi_b32 v2, s19, v2, v36
	v_pk_add_f16 v5, v5, v7
	v_pk_mul_f16 v7, v21, s24
	s_mov_b32 s24, 0xba0c3853
	v_add_f16_e32 v37, v39, v37
	v_fma_f16 v40, v20, s11, v62
	v_pk_add_f16 v1, v2, v1
	v_bfi_b32 v2, s19, v38, v33
	v_add_f16_e32 v37, v40, v37
	v_pk_fma_f16 v40, v19, s24, v7 op_sel:[0,0,1] op_sel_hi:[1,1,0] neg_lo:[1,0,0] neg_hi:[1,0,0]
	v_pk_add_f16 v1, v2, v1
	v_pk_fma_f16 v2, v19, s24, v7 op_sel:[0,0,1] op_sel_hi:[1,1,0]
	v_bfi_b32 v2, s19, v2, v40
	v_pk_add_f16 v1, v2, v1
	v_alignbit_b32 v2, v53, v1, 16
	v_pack_b32_f16 v1, v59, v1
	ds_write2_b32 v11, v1, v2 offset0:2 offset1:3
	v_pack_b32_f16 v1, v47, v9
	ds_write_b32 v11, v1 offset:16
	v_pk_mul_f16 v1, v14, s17 op_sel_hi:[1,0]
	v_pk_fma_f16 v2, v10, s15, v1 op_sel:[0,0,1] op_sel_hi:[1,0,0] neg_lo:[1,0,0] neg_hi:[1,0,0]
	v_pk_mul_f16 v6, v15, s9 op_sel_hi:[1,0]
	v_alignbit_b32 v4, s0, v2, 16
	v_pk_fma_f16 v9, v12, s18, v6 op_sel:[0,0,1] op_sel_hi:[1,0,0] neg_lo:[1,0,0] neg_hi:[1,0,0]
	v_pk_add_f16 v4, v4, v0
	v_alignbit_b32 v14, s0, v9, 16
	v_pk_add_f16 v4, v14, v4
	v_pk_mul_f16 v14, v18, s16 op_sel_hi:[1,0]
	v_pk_fma_f16 v15, v13, s14, v14 op_sel:[0,0,1] op_sel_hi:[1,0,0] neg_lo:[1,0,0] neg_hi:[1,0,0]
	v_alignbit_b32 v18, s0, v15, 16
	v_alignbit_b32 v39, s0, v0, 16
	v_fma_f16 v41, v21, s9, v63
	v_pk_add_f16 v4, v18, v4
	v_pk_mul_f16 v18, v20, s10 op_sel_hi:[1,0]
	v_pk_fma_f16 v1, v10, s15, v1 op_sel:[0,0,1] op_sel_hi:[1,0,0]
	v_add_f16_e32 v37, v41, v37
	v_add_f16_sdwa v41, v26, v0 dst_sel:DWORD dst_unused:UNUSED_PAD src0_sel:DWORD src1_sel:WORD_1
	v_pk_fma_f16 v20, v17, s20, v18 op_sel:[0,0,1] op_sel_hi:[1,0,0] neg_lo:[1,0,0] neg_hi:[1,0,0]
	v_pk_add_f16 v2, v2, v39
	v_pk_add_f16 v0, v1, v0 op_sel:[0,1] op_sel_hi:[1,0]
	v_pk_fma_f16 v1, v12, s18, v6 op_sel:[0,0,1] op_sel_hi:[1,0,0]
	v_add_f16_e32 v41, v24, v41
	v_alignbit_b32 v24, s0, v20, 16
	v_pk_mul_f16 v21, v21, s11 op_sel_hi:[1,0]
	v_pk_add_f16 v2, v9, v2
	v_pk_add_f16 v0, v1, v0
	v_pk_fma_f16 v1, v13, s14, v14 op_sel:[0,0,1] op_sel_hi:[1,0,0]
	v_pk_add_f16 v4, v24, v4
	v_pk_fma_f16 v24, v19, s8, v21 op_sel:[0,0,1] op_sel_hi:[1,0,0] neg_lo:[1,0,0] neg_hi:[1,0,0]
	v_pk_add_f16 v2, v15, v2
	v_pk_add_f16 v0, v1, v0
	v_pk_fma_f16 v1, v17, s20, v18 op_sel:[0,0,1] op_sel_hi:[1,0,0]
	v_alignbit_b32 v25, s0, v24, 16
	v_pk_add_f16 v2, v20, v2
	v_pk_add_f16 v0, v1, v0
	v_pk_fma_f16 v1, v19, s8, v21 op_sel:[0,0,1] op_sel_hi:[1,0,0]
	v_pk_add_f16 v4, v25, v4
	v_pk_add_f16 v2, v24, v2
	;; [unrolled: 1-line block ×4, first 2 shown]
	v_alignbit_b32 v1, v2, v0, 16
	v_pack_b32_f16 v0, v4, v0
	v_mul_f16_e32 v23, 0x3b47, v19
	ds_write2_b32 v11, v0, v1 offset0:5 offset1:6
	v_lshlrev_b32_e32 v0, 16, v3
	v_pk_mul_f16 v5, v19, s24
	v_pk_add_f16 v1, v43, v23 neg_lo:[0,1] neg_hi:[0,1]
	v_pk_add_f16 v0, v38, v0
	v_bfi_b32 v0, s19, v1, v0
	v_pack_b32_f16 v1, v8, v7
	v_bfi_b32 v2, s19, v32, v5
	v_add_f16_e32 v41, v36, v41
	v_pk_add_f16 v1, v1, v2
	v_add_f16_e32 v41, v33, v41
	v_pk_add_f16 v0, v0, v1
	v_add_f16_e32 v41, v40, v41
	v_alignbit_b32 v1, v22, v0, 16
	v_pack_b32_f16 v0, v34, v0
	s_mov_b32 s8, 0x5040100
	ds_write2_b32 v11, v0, v1 offset0:7 offset1:8
	v_pack_b32_f16 v0, v37, v41
	v_perm_b32 v1, v30, v31, s8
	ds_write2_b32 v11, v0, v1 offset0:9 offset1:10
.LBB0_7:
	s_or_b64 exec, exec, s[4:5]
	s_movk_i32 s4, 0x75
	v_mul_lo_u16_sdwa v0, v28, s4 dst_sel:DWORD dst_unused:UNUSED_PAD src0_sel:BYTE_0 src1_sel:DWORD
	v_sub_u16_sdwa v1, v28, v0 dst_sel:DWORD dst_unused:UNUSED_PAD src0_sel:DWORD src1_sel:BYTE_1
	v_lshrrev_b16_e32 v1, 1, v1
	v_and_b32_e32 v1, 0x7f, v1
	v_add_u16_sdwa v0, v1, v0 dst_sel:DWORD dst_unused:UNUSED_PAD src0_sel:DWORD src1_sel:BYTE_1
	v_lshrrev_b16_e32 v19, 3, v0
	v_mul_lo_u16_e32 v0, 11, v19
	v_sub_u16_e32 v0, v28, v0
	v_and_b32_e32 v20, 0xff, v0
	v_mad_u64_u32 v[8:9], s[4:5], v20, 36, s[0:1]
	s_load_dwordx4 s[8:11], s[2:3], 0x0
	s_waitcnt lgkmcnt(0)
	; wave barrier
	s_waitcnt lgkmcnt(0)
	global_load_dwordx4 v[0:3], v[8:9], off
	global_load_dwordx4 v[4:7], v[8:9], off offset:16
	global_load_dword v32, v[8:9], off offset:32
	v_add_u32_e32 v45, 0x200, v27
	ds_read2_b32 v[8:9], v27 offset1:55
	ds_read2_b32 v[10:11], v27 offset0:110 offset1:165
	v_add_u32_e32 v39, 0x400, v27
	ds_read2_b32 v[12:13], v45 offset0:92 offset1:147
	ds_read2_b32 v[14:15], v39 offset0:74 offset1:129
	;; [unrolled: 1-line block ×3, first 2 shown]
	s_movk_i32 s3, 0x3b9c
	s_waitcnt lgkmcnt(4)
	v_lshrrev_b32_e32 v23, 16, v9
	s_waitcnt lgkmcnt(2)
	v_lshrrev_b32_e32 v26, 16, v12
	;; [unrolled: 2-line block ×3, first 2 shown]
	v_lshrrev_b32_e32 v24, 16, v10
	s_waitcnt lgkmcnt(0)
	v_lshrrev_b32_e32 v36, 16, v17
	v_lshrrev_b32_e32 v25, 16, v11
	;; [unrolled: 1-line block ×3, first 2 shown]
	s_mov_b32 s5, 0xbb9c
	s_movk_i32 s2, 0x38b4
	s_mov_b32 s14, 0xb8b4
	v_lshrrev_b32_e32 v22, 16, v8
	s_movk_i32 s4, 0x34f2
	v_lshrrev_b32_e32 v35, 16, v15
	v_lshrrev_b32_e32 v37, 16, v18
	s_movk_i32 s15, 0x3a79
	s_waitcnt lgkmcnt(0)
	; wave barrier
	v_lshlrev_b32_e32 v21, 4, v28
	s_waitcnt vmcnt(2)
	v_mul_f16_sdwa v46, v26, v3 dst_sel:DWORD dst_unused:UNUSED_PAD src0_sel:DWORD src1_sel:WORD_1
	s_waitcnt vmcnt(1)
	v_mul_f16_sdwa v50, v34, v5 dst_sel:DWORD dst_unused:UNUSED_PAD src0_sel:DWORD src1_sel:WORD_1
	v_mul_f16_sdwa v40, v9, v0 dst_sel:DWORD dst_unused:UNUSED_PAD src0_sel:DWORD src1_sel:WORD_1
	;; [unrolled: 1-line block ×8, first 2 shown]
	v_fma_f16 v12, v12, v3, -v46
	v_fma_f16 v14, v14, v5, -v50
	v_mul_f16_sdwa v38, v23, v0 dst_sel:DWORD dst_unused:UNUSED_PAD src0_sel:DWORD src1_sel:WORD_1
	v_fma_f16 v23, v23, v0, v40
	v_fma_f16 v10, v10, v1, -v41
	v_fma_f16 v24, v24, v1, v42
	v_fma_f16 v17, v17, v7, -v54
	v_fma_f16 v36, v36, v7, v55
	v_add_f16_e32 v40, v12, v14
	v_mul_f16_sdwa v43, v25, v2 dst_sel:DWORD dst_unused:UNUSED_PAD src0_sel:DWORD src1_sel:WORD_1
	v_mul_f16_sdwa v44, v11, v2 dst_sel:DWORD dst_unused:UNUSED_PAD src0_sel:DWORD src1_sel:WORD_1
	;; [unrolled: 1-line block ×3, first 2 shown]
	v_fma_f16 v26, v26, v3, v47
	v_fma_f16 v34, v34, v5, v51
	v_sub_f16_e32 v41, v24, v36
	v_add_f16_e32 v46, v10, v17
	v_fma_f16 v40, v40, -0.5, v8
	v_mul_f16_sdwa v49, v13, v4 dst_sel:DWORD dst_unused:UNUSED_PAD src0_sel:DWORD src1_sel:WORD_1
	v_fma_f16 v9, v9, v0, -v38
	v_fma_f16 v11, v11, v2, -v43
	v_fma_f16 v25, v25, v2, v44
	v_fma_f16 v13, v13, v4, -v48
	v_add_f16_e32 v38, v8, v10
	v_sub_f16_e32 v42, v26, v34
	v_sub_f16_e32 v43, v10, v12
	;; [unrolled: 1-line block ×5, first 2 shown]
	v_fma_f16 v8, v46, -0.5, v8
	v_fma_f16 v46, v41, s3, v40
	v_fma_f16 v40, v41, s5, v40
	v_add_f16_e32 v38, v38, v12
	v_add_f16_e32 v43, v43, v44
	;; [unrolled: 1-line block ×3, first 2 shown]
	v_fma_f16 v47, v42, s5, v8
	v_fma_f16 v46, v42, s2, v46
	;; [unrolled: 1-line block ×4, first 2 shown]
	v_add_f16_e32 v42, v26, v34
	v_add_f16_e32 v38, v38, v14
	v_fma_f16 v42, v42, -0.5, v22
	v_sub_f16_e32 v10, v10, v17
	v_add_f16_e32 v38, v38, v17
	v_fma_f16 v47, v41, s2, v47
	v_fma_f16 v8, v41, s14, v8
	;; [unrolled: 1-line block ×3, first 2 shown]
	v_sub_f16_e32 v12, v12, v14
	v_fma_f16 v46, v43, s4, v46
	v_fma_f16 v40, v43, s4, v40
	v_fma_f16 v43, v44, s4, v47
	v_fma_f16 v8, v44, s4, v8
	v_fma_f16 v14, v12, s14, v17
	v_sub_f16_e32 v17, v24, v26
	v_sub_f16_e32 v44, v36, v34
	v_fma_f16 v42, v10, s3, v42
	v_add_f16_e32 v17, v17, v44
	v_fma_f16 v42, v12, s2, v42
	v_fma_f16 v14, v17, s4, v14
	;; [unrolled: 1-line block ×3, first 2 shown]
	v_add_f16_e32 v42, v24, v36
	v_mul_f16_sdwa v52, v35, v6 dst_sel:DWORD dst_unused:UNUSED_PAD src0_sel:DWORD src1_sel:WORD_1
	v_add_f16_e32 v41, v22, v24
	v_fma_f16 v22, v42, -0.5, v22
	v_mul_f16_sdwa v53, v15, v6 dst_sel:DWORD dst_unused:UNUSED_PAD src0_sel:DWORD src1_sel:WORD_1
	s_waitcnt vmcnt(0)
	v_mul_f16_sdwa v57, v18, v32 dst_sel:DWORD dst_unused:UNUSED_PAD src0_sel:DWORD src1_sel:WORD_1
	v_fma_f16 v15, v15, v6, -v52
	v_add_f16_e32 v41, v41, v26
	v_fma_f16 v42, v12, s3, v22
	v_sub_f16_e32 v24, v26, v24
	v_sub_f16_e32 v26, v34, v36
	v_fma_f16 v12, v12, s5, v22
	v_mul_f16_sdwa v56, v37, v32 dst_sel:DWORD dst_unused:UNUSED_PAD src0_sel:DWORD src1_sel:WORD_1
	v_fma_f16 v37, v37, v32, v57
	v_fma_f16 v42, v10, s14, v42
	v_add_f16_e32 v24, v24, v26
	v_fma_f16 v10, v10, s2, v12
	v_add_f16_e32 v22, v13, v15
	v_fma_f16 v33, v33, v4, v49
	v_fma_f16 v35, v35, v6, v53
	v_fma_f16 v18, v18, v32, -v56
	v_add_f16_e32 v41, v41, v34
	v_fma_f16 v26, v24, s4, v42
	v_fma_f16 v10, v24, s4, v10
	v_fma_f16 v22, v22, -0.5, v9
	v_sub_f16_e32 v24, v25, v37
	v_add_f16_e32 v41, v41, v36
	v_fma_f16 v34, v24, s3, v22
	v_sub_f16_e32 v36, v33, v35
	v_sub_f16_e32 v42, v11, v13
	;; [unrolled: 1-line block ×3, first 2 shown]
	v_fma_f16 v22, v24, s5, v22
	v_fma_f16 v34, v36, s2, v34
	v_add_f16_e32 v42, v42, v44
	v_fma_f16 v22, v36, s14, v22
	v_fma_f16 v34, v42, s4, v34
	;; [unrolled: 1-line block ×3, first 2 shown]
	v_add_f16_e32 v42, v11, v18
	v_add_f16_e32 v12, v9, v11
	v_fma_f16 v9, v42, -0.5, v9
	v_add_f16_e32 v12, v12, v13
	v_fma_f16 v42, v36, s5, v9
	v_fma_f16 v9, v36, s3, v9
	v_add_f16_e32 v36, v33, v35
	v_add_f16_e32 v12, v12, v15
	v_sub_f16_e32 v44, v13, v11
	v_sub_f16_e32 v47, v15, v18
	v_fma_f16 v36, v36, -0.5, v23
	v_sub_f16_e32 v11, v11, v18
	v_add_f16_e32 v12, v12, v18
	v_fma_f16 v42, v24, s2, v42
	v_add_f16_e32 v44, v44, v47
	v_fma_f16 v9, v24, s14, v9
	v_fma_f16 v18, v11, s5, v36
	v_sub_f16_e32 v13, v13, v15
	v_fma_f16 v42, v44, s4, v42
	v_fma_f16 v9, v44, s4, v9
	;; [unrolled: 1-line block ×3, first 2 shown]
	v_sub_f16_e32 v18, v25, v33
	v_sub_f16_e32 v44, v37, v35
	v_fma_f16 v36, v11, s3, v36
	v_add_f16_e32 v18, v18, v44
	v_fma_f16 v36, v13, s2, v36
	v_fma_f16 v15, v18, s4, v15
	;; [unrolled: 1-line block ×3, first 2 shown]
	v_add_f16_e32 v36, v25, v37
	v_add_f16_e32 v24, v23, v25
	v_fma_f16 v23, v36, -0.5, v23
	v_add_f16_e32 v24, v24, v33
	v_fma_f16 v36, v13, s3, v23
	v_sub_f16_e32 v25, v33, v25
	v_sub_f16_e32 v33, v35, v37
	v_fma_f16 v13, v13, s5, v23
	v_add_f16_e32 v24, v24, v35
	v_fma_f16 v36, v11, s14, v36
	v_add_f16_e32 v25, v25, v33
	;; [unrolled: 2-line block ×3, first 2 shown]
	v_fma_f16 v33, v25, s4, v36
	v_fma_f16 v11, v25, s4, v11
	v_mul_f16_e32 v23, 0x38b4, v15
	v_mul_f16_e32 v37, 0x34f2, v9
	;; [unrolled: 1-line block ×3, first 2 shown]
	v_fma_f16 v23, v34, s15, v23
	v_mul_f16_e32 v35, 0x3b9c, v33
	v_fma_f16 v37, v11, s3, -v37
	v_fma_f16 v47, v18, s2, -v47
	v_mul_f16_e32 v34, 0xb8b4, v34
	v_mul_f16_e32 v11, 0x34f2, v11
	;; [unrolled: 1-line block ×3, first 2 shown]
	v_fma_f16 v35, v42, s4, v35
	v_fma_f16 v15, v15, s15, v34
	v_mul_f16_e32 v42, 0xbb9c, v42
	v_fma_f16 v9, v9, s5, -v11
	v_fma_f16 v18, v22, s14, -v18
	v_add_f16_e32 v13, v38, v12
	v_add_f16_e32 v25, v46, v23
	v_add_f16_e32 v49, v41, v24
	v_add_f16_e32 v34, v14, v15
	v_fma_f16 v33, v33, s4, v42
	v_add_f16_e32 v11, v10, v9
	v_add_f16_e32 v22, v17, v18
	v_sub_f16_e32 v9, v10, v9
	v_sub_f16_e32 v10, v17, v18
	v_mul_u32_u24_e32 v17, 0x6e, v19
	v_add_f16_e32 v36, v43, v35
	v_add_f16_e32 v44, v8, v37
	;; [unrolled: 1-line block ×3, first 2 shown]
	v_sub_f16_e32 v14, v14, v15
	v_sub_f16_e32 v15, v26, v33
	v_add_lshl_u32 v33, v17, v20, 2
	v_pack_b32_f16 v13, v13, v49
	v_pack_b32_f16 v17, v25, v34
	v_add_f16_e32 v48, v40, v47
	v_sub_f16_e32 v12, v38, v12
	v_sub_f16_e32 v24, v41, v24
	ds_write2_b32 v33, v13, v17 offset1:11
	v_pack_b32_f16 v13, v36, v42
	v_pack_b32_f16 v11, v44, v11
	v_sub_f16_e32 v23, v46, v23
	v_sub_f16_e32 v35, v43, v35
	;; [unrolled: 1-line block ×4, first 2 shown]
	ds_write2_b32 v33, v13, v11 offset0:22 offset1:33
	v_pack_b32_f16 v11, v48, v22
	v_pack_b32_f16 v12, v12, v24
	ds_write2_b32 v33, v11, v12 offset0:44 offset1:55
	v_pack_b32_f16 v11, v23, v14
	v_pack_b32_f16 v12, v35, v15
	;; [unrolled: 1-line block ×4, first 2 shown]
	ds_write2_b32 v33, v11, v12 offset0:66 offset1:77
	ds_write2_b32 v33, v8, v9 offset0:88 offset1:99
	s_waitcnt lgkmcnt(0)
	; wave barrier
	s_waitcnt lgkmcnt(0)
	global_load_dwordx4 v[8:11], v21, s[0:1] offset:396
	v_add_u32_e32 v12, 0x370, v21
	global_load_dwordx4 v[12:15], v12, s[0:1] offset:396
	ds_read2_b32 v[22:23], v27 offset1:55
	ds_read2_b32 v[17:18], v27 offset0:110 offset1:165
	ds_read2_b32 v[19:20], v45 offset0:92 offset1:147
	;; [unrolled: 1-line block ×4, first 2 shown]
	s_waitcnt lgkmcnt(4)
	v_lshrrev_b32_e32 v26, 16, v22
	s_waitcnt lgkmcnt(3)
	v_lshrrev_b32_e32 v21, 16, v17
	;; [unrolled: 2-line block ×5, first 2 shown]
	v_lshrrev_b32_e32 v40, 16, v18
	v_lshrrev_b32_e32 v41, 16, v20
	;; [unrolled: 1-line block ×5, first 2 shown]
	s_waitcnt vmcnt(1)
	v_mul_f16_sdwa v46, v21, v8 dst_sel:DWORD dst_unused:UNUSED_PAD src0_sel:DWORD src1_sel:WORD_1
	v_fma_f16 v46, v17, v8, -v46
	v_mul_f16_sdwa v17, v17, v8 dst_sel:DWORD dst_unused:UNUSED_PAD src0_sel:DWORD src1_sel:WORD_1
	v_fma_f16 v47, v21, v8, v17
	v_mul_f16_sdwa v17, v36, v9 dst_sel:DWORD dst_unused:UNUSED_PAD src0_sel:DWORD src1_sel:WORD_1
	v_fma_f16 v48, v19, v9, -v17
	v_mul_f16_sdwa v17, v19, v9 dst_sel:DWORD dst_unused:UNUSED_PAD src0_sel:DWORD src1_sel:WORD_1
	v_fma_f16 v49, v36, v9, v17
	;; [unrolled: 4-line block ×4, first 2 shown]
	s_waitcnt vmcnt(0)
	v_mul_f16_sdwa v17, v40, v12 dst_sel:DWORD dst_unused:UNUSED_PAD src0_sel:DWORD src1_sel:WORD_1
	v_fma_f16 v50, v18, v12, -v17
	v_mul_f16_sdwa v17, v18, v12 dst_sel:DWORD dst_unused:UNUSED_PAD src0_sel:DWORD src1_sel:WORD_1
	v_fma_f16 v51, v40, v12, v17
	v_mul_f16_sdwa v17, v41, v13 dst_sel:DWORD dst_unused:UNUSED_PAD src0_sel:DWORD src1_sel:WORD_1
	v_fma_f16 v52, v20, v13, -v17
	v_mul_f16_sdwa v17, v20, v13 dst_sel:DWORD dst_unused:UNUSED_PAD src0_sel:DWORD src1_sel:WORD_1
	v_add_f16_e32 v18, v48, v36
	v_fma_f16 v53, v41, v13, v17
	v_mul_f16_sdwa v17, v42, v14 dst_sel:DWORD dst_unused:UNUSED_PAD src0_sel:DWORD src1_sel:WORD_1
	v_fma_f16 v19, v18, -0.5, v22
	v_sub_f16_e32 v20, v47, v38
	v_fma_f16 v41, v25, v14, -v17
	v_mul_f16_sdwa v17, v25, v14 dst_sel:DWORD dst_unused:UNUSED_PAD src0_sel:DWORD src1_sel:WORD_1
	v_fma_f16 v18, v20, s3, v19
	v_sub_f16_e32 v25, v49, v24
	v_sub_f16_e32 v21, v46, v48
	;; [unrolled: 1-line block ×3, first 2 shown]
	v_fma_f16 v19, v20, s5, v19
	v_fma_f16 v54, v42, v14, v17
	v_mul_f16_sdwa v17, v44, v15 dst_sel:DWORD dst_unused:UNUSED_PAD src0_sel:DWORD src1_sel:WORD_1
	v_fma_f16 v18, v25, s2, v18
	v_add_f16_e32 v21, v21, v34
	v_fma_f16 v19, v25, s14, v19
	v_fma_f16 v42, v35, v15, -v17
	v_mul_f16_sdwa v17, v35, v15 dst_sel:DWORD dst_unused:UNUSED_PAD src0_sel:DWORD src1_sel:WORD_1
	v_fma_f16 v18, v21, s4, v18
	v_fma_f16 v19, v21, s4, v19
	v_add_f16_e32 v21, v46, v37
	v_fma_f16 v44, v44, v15, v17
	v_add_f16_e32 v17, v22, v46
	v_fma_f16 v22, v21, -0.5, v22
	v_fma_f16 v21, v25, s5, v22
	v_sub_f16_e32 v34, v48, v46
	v_sub_f16_e32 v35, v36, v37
	v_fma_f16 v22, v25, s3, v22
	v_fma_f16 v21, v20, s2, v21
	v_add_f16_e32 v34, v34, v35
	v_fma_f16 v20, v20, s14, v22
	v_fma_f16 v22, v34, s4, v20
	v_add_f16_e32 v20, v26, v47
	v_add_f16_e32 v20, v20, v49
	v_add_f16_e32 v20, v20, v24
	v_add_f16_e32 v17, v17, v48
	v_fma_f16 v21, v34, s4, v21
	v_add_f16_e32 v34, v20, v38
	v_add_f16_e32 v20, v49, v24
	;; [unrolled: 1-line block ×3, first 2 shown]
	v_fma_f16 v20, v20, -0.5, v26
	v_sub_f16_e32 v25, v46, v37
	v_add_f16_e32 v17, v17, v37
	v_fma_f16 v35, v25, s5, v20
	v_sub_f16_e32 v40, v48, v36
	v_sub_f16_e32 v36, v47, v49
	;; [unrolled: 1-line block ×3, first 2 shown]
	v_fma_f16 v20, v25, s3, v20
	v_fma_f16 v35, v40, s14, v35
	v_add_f16_e32 v36, v36, v37
	v_fma_f16 v20, v40, s2, v20
	v_fma_f16 v35, v36, s4, v35
	;; [unrolled: 1-line block ×3, first 2 shown]
	v_add_f16_e32 v20, v47, v38
	v_fma_f16 v20, v20, -0.5, v26
	v_fma_f16 v26, v40, s3, v20
	v_sub_f16_e32 v37, v49, v47
	v_sub_f16_e32 v24, v24, v38
	v_fma_f16 v20, v40, s5, v20
	v_fma_f16 v26, v25, s14, v26
	v_add_f16_e32 v24, v37, v24
	v_fma_f16 v20, v25, s2, v20
	v_fma_f16 v37, v24, s4, v26
	;; [unrolled: 1-line block ×3, first 2 shown]
	v_add_f16_e32 v24, v52, v41
	v_fma_f16 v24, v24, -0.5, v23
	v_sub_f16_e32 v40, v51, v44
	v_fma_f16 v25, v40, s3, v24
	v_sub_f16_e32 v46, v53, v54
	v_sub_f16_e32 v26, v50, v52
	;; [unrolled: 1-line block ×3, first 2 shown]
	v_fma_f16 v24, v40, s5, v24
	v_fma_f16 v25, v46, s2, v25
	v_add_f16_e32 v26, v26, v47
	v_fma_f16 v24, v46, s14, v24
	v_fma_f16 v25, v26, s4, v25
	;; [unrolled: 1-line block ×3, first 2 shown]
	v_add_f16_e32 v26, v50, v42
	v_add_f16_e32 v20, v23, v50
	v_fma_f16 v23, v26, -0.5, v23
	v_fma_f16 v26, v46, s5, v23
	v_sub_f16_e32 v47, v52, v50
	v_sub_f16_e32 v48, v41, v42
	v_fma_f16 v23, v46, s3, v23
	v_add_f16_e32 v20, v20, v52
	v_fma_f16 v26, v40, s2, v26
	v_add_f16_e32 v47, v47, v48
	v_fma_f16 v23, v40, s14, v23
	v_add_f16_e32 v46, v53, v54
	v_add_f16_e32 v20, v20, v41
	v_fma_f16 v26, v47, s4, v26
	v_fma_f16 v23, v47, s4, v23
	v_fma_f16 v46, v46, -0.5, v43
	v_sub_f16_e32 v47, v50, v42
	v_add_f16_e32 v20, v20, v42
	v_fma_f16 v42, v47, s5, v46
	v_sub_f16_e32 v48, v52, v41
	v_fma_f16 v41, v48, s14, v42
	v_sub_f16_e32 v42, v51, v53
	v_sub_f16_e32 v49, v44, v54
	v_fma_f16 v46, v47, s3, v46
	v_add_f16_e32 v40, v43, v51
	v_add_f16_e32 v42, v42, v49
	v_fma_f16 v46, v48, s2, v46
	v_add_f16_e32 v40, v40, v53
	v_fma_f16 v41, v42, s4, v41
	v_fma_f16 v42, v42, s4, v46
	v_add_f16_e32 v46, v51, v44
	v_add_f16_e32 v40, v40, v54
	v_fma_f16 v46, v46, -0.5, v43
	v_add_f16_e32 v40, v40, v44
	v_fma_f16 v43, v48, s3, v46
	v_sub_f16_e32 v49, v53, v51
	v_sub_f16_e32 v44, v54, v44
	v_fma_f16 v46, v48, s5, v46
	v_fma_f16 v43, v47, s14, v43
	v_add_f16_e32 v44, v49, v44
	v_fma_f16 v46, v47, s2, v46
	v_fma_f16 v43, v44, s4, v43
	;; [unrolled: 1-line block ×3, first 2 shown]
	v_pack_b32_f16 v46, v17, v34
	v_pack_b32_f16 v51, v20, v40
	;; [unrolled: 1-line block ×3, first 2 shown]
	ds_write2_b32 v27, v46, v51 offset1:55
	v_pack_b32_f16 v46, v25, v41
	v_pack_b32_f16 v48, v21, v37
	ds_write2_b32 v27, v47, v46 offset0:110 offset1:165
	v_pack_b32_f16 v46, v26, v43
	v_pack_b32_f16 v49, v22, v38
	ds_write2_b32 v45, v48, v46 offset0:92 offset1:147
	;; [unrolled: 3-line block ×3, first 2 shown]
	v_pack_b32_f16 v46, v24, v42
	ds_write2_b32 v39, v50, v46 offset0:184 offset1:239
	s_waitcnt lgkmcnt(0)
	; wave barrier
	s_waitcnt lgkmcnt(0)
	s_and_saveexec_b64 s[0:1], vcc
	s_cbranch_execz .LBB0_9
; %bb.8:
	ds_read_b32 v46, v27
	global_load_dword v48, v27, s[6:7] offset:2200
	s_add_u32 s2, s6, 0x898
	s_addc_u32 s3, s7, 0
	s_waitcnt lgkmcnt(0)
	v_lshrrev_b32_e32 v47, 16, v46
	s_waitcnt vmcnt(0)
	v_mul_f16_sdwa v49, v47, v48 dst_sel:DWORD dst_unused:UNUSED_PAD src0_sel:DWORD src1_sel:WORD_1
	v_fma_f16 v49, v46, v48, -v49
	v_mul_f16_sdwa v46, v46, v48 dst_sel:DWORD dst_unused:UNUSED_PAD src0_sel:DWORD src1_sel:WORD_1
	v_fma_f16 v46, v47, v48, v46
	v_pack_b32_f16 v46, v49, v46
	global_load_dword v49, v27, s[2:3] offset:200
	ds_write_b32 v27, v46
	ds_read2_b32 v[46:47], v27 offset0:50 offset1:100
	s_waitcnt lgkmcnt(0)
	v_lshrrev_b32_e32 v48, 16, v46
	s_waitcnt vmcnt(0)
	v_mul_f16_sdwa v50, v48, v49 dst_sel:DWORD dst_unused:UNUSED_PAD src0_sel:DWORD src1_sel:WORD_1
	v_fma_f16 v50, v46, v49, -v50
	v_mul_f16_sdwa v46, v46, v49 dst_sel:DWORD dst_unused:UNUSED_PAD src0_sel:DWORD src1_sel:WORD_1
	v_fma_f16 v46, v48, v49, v46
	global_load_dword v49, v27, s[2:3] offset:400
	v_lshrrev_b32_e32 v48, 16, v47
	v_pack_b32_f16 v46, v50, v46
	s_waitcnt vmcnt(0)
	v_mul_f16_sdwa v50, v48, v49 dst_sel:DWORD dst_unused:UNUSED_PAD src0_sel:DWORD src1_sel:WORD_1
	v_fma_f16 v50, v47, v49, -v50
	v_mul_f16_sdwa v47, v47, v49 dst_sel:DWORD dst_unused:UNUSED_PAD src0_sel:DWORD src1_sel:WORD_1
	v_fma_f16 v47, v48, v49, v47
	global_load_dword v49, v27, s[2:3] offset:600
	v_pack_b32_f16 v47, v50, v47
	ds_write2_b32 v27, v46, v47 offset0:50 offset1:100
	ds_read2_b32 v[46:47], v27 offset0:150 offset1:200
	s_waitcnt lgkmcnt(0)
	v_lshrrev_b32_e32 v48, 16, v46
	s_waitcnt vmcnt(0)
	v_mul_f16_sdwa v50, v48, v49 dst_sel:DWORD dst_unused:UNUSED_PAD src0_sel:DWORD src1_sel:WORD_1
	v_fma_f16 v50, v46, v49, -v50
	v_mul_f16_sdwa v46, v46, v49 dst_sel:DWORD dst_unused:UNUSED_PAD src0_sel:DWORD src1_sel:WORD_1
	v_fma_f16 v46, v48, v49, v46
	global_load_dword v49, v27, s[2:3] offset:800
	v_lshrrev_b32_e32 v48, 16, v47
	v_pack_b32_f16 v46, v50, v46
	s_waitcnt vmcnt(0)
	v_mul_f16_sdwa v50, v48, v49 dst_sel:DWORD dst_unused:UNUSED_PAD src0_sel:DWORD src1_sel:WORD_1
	v_fma_f16 v50, v47, v49, -v50
	v_mul_f16_sdwa v47, v47, v49 dst_sel:DWORD dst_unused:UNUSED_PAD src0_sel:DWORD src1_sel:WORD_1
	v_fma_f16 v47, v48, v49, v47
	global_load_dword v49, v27, s[2:3] offset:1000
	v_pack_b32_f16 v47, v50, v47
	ds_write2_b32 v27, v46, v47 offset0:150 offset1:200
	;; [unrolled: 19-line block ×4, first 2 shown]
	ds_read2_b32 v[45:46], v39 offset0:194 offset1:244
	s_waitcnt lgkmcnt(0)
	v_lshrrev_b32_e32 v47, 16, v45
	s_waitcnt vmcnt(0)
	v_mul_f16_sdwa v49, v47, v48 dst_sel:DWORD dst_unused:UNUSED_PAD src0_sel:DWORD src1_sel:WORD_1
	v_fma_f16 v49, v45, v48, -v49
	v_mul_f16_sdwa v45, v45, v48 dst_sel:DWORD dst_unused:UNUSED_PAD src0_sel:DWORD src1_sel:WORD_1
	v_fma_f16 v45, v47, v48, v45
	global_load_dword v48, v27, s[2:3] offset:2000
	v_lshrrev_b32_e32 v47, 16, v46
	v_pack_b32_f16 v45, v49, v45
	s_waitcnt vmcnt(0)
	v_mul_f16_sdwa v49, v47, v48 dst_sel:DWORD dst_unused:UNUSED_PAD src0_sel:DWORD src1_sel:WORD_1
	v_fma_f16 v49, v46, v48, -v49
	v_mul_f16_sdwa v46, v46, v48 dst_sel:DWORD dst_unused:UNUSED_PAD src0_sel:DWORD src1_sel:WORD_1
	v_fma_f16 v46, v47, v48, v46
	v_pack_b32_f16 v46, v49, v46
	ds_write2_b32 v39, v45, v46 offset0:194 offset1:244
.LBB0_9:
	s_or_b64 exec, exec, s[0:1]
	s_waitcnt lgkmcnt(0)
	; wave barrier
	s_waitcnt lgkmcnt(0)
	s_and_saveexec_b64 s[0:1], vcc
	s_cbranch_execz .LBB0_11
; %bb.10:
	v_add_u32_e32 v23, 0x400, v27
	ds_read2_b32 v[17:18], v27 offset1:50
	ds_read2_b32 v[21:22], v27 offset0:100 offset1:150
	ds_read2_b32 v[19:20], v27 offset0:200 offset1:250
	;; [unrolled: 1-line block ×4, first 2 shown]
	ds_read_b32 v31, v27 offset:2000
	s_waitcnt lgkmcnt(5)
	v_lshrrev_b32_e32 v34, 16, v17
	v_lshrrev_b32_e32 v35, 16, v18
	s_waitcnt lgkmcnt(4)
	v_lshrrev_b32_e32 v37, 16, v21
	v_lshrrev_b32_e32 v38, 16, v22
	;; [unrolled: 3-line block ×5, first 2 shown]
	s_waitcnt lgkmcnt(0)
	v_lshrrev_b32_e32 v30, 16, v31
.LBB0_11:
	s_or_b64 exec, exec, s[0:1]
	s_waitcnt lgkmcnt(0)
	; wave barrier
	s_and_saveexec_b64 s[0:1], vcc
	s_cbranch_execz .LBB0_13
; %bb.12:
	v_add_f16_e32 v39, v30, v35
	v_mul_f16_e32 v45, 0xbbad, v39
	v_sub_f16_e32 v46, v18, v31
	s_movk_i32 s16, 0x3482
	v_add_f16_e32 v48, v42, v37
	v_fma_f16 v47, v46, s16, v45
	v_mul_f16_e32 v49, 0x3abb, v48
	v_sub_f16_e32 v50, v21, v24
	s_mov_b32 s14, 0xb853
	v_add_f16_e32 v47, v34, v47
	v_fma_f16 v51, v50, s14, v49
	v_add_f16_e32 v47, v51, v47
	v_add_f16_e32 v51, v44, v38
	v_mul_f16_e32 v52, 0xb93d, v51
	v_sub_f16_e32 v53, v22, v23
	s_movk_i32 s22, 0x3a0c
	v_fma_f16 v54, v53, s22, v52
	v_add_f16_e32 v47, v54, v47
	v_add_f16_e32 v54, v43, v36
	v_mul_f16_e32 v55, 0x36a6, v54
	v_sub_f16_e32 v56, v19, v26
	s_mov_b32 s17, 0xbb47
	v_fma_f16 v57, v56, s17, v55
	v_add_f16_e32 v47, v57, v47
	v_add_f16_e32 v57, v41, v40
	v_mul_f16_e32 v58, 0xb08e, v57
	v_sub_f16_e32 v59, v20, v25
	s_movk_i32 s19, 0x3beb
	v_fma_f16 v60, v59, s19, v58
	v_sub_f16_e32 v61, v35, v30
	s_mov_b32 s2, 0xbbad
	v_add_f16_e32 v47, v60, v47
	v_add_f16_e32 v60, v31, v18
	v_mul_f16_e32 v62, 0xb482, v61
	v_sub_f16_e32 v65, v37, v42
	s_movk_i32 s3, 0x3abb
	v_fma_f16 v63, v60, s2, v62
	v_add_f16_e32 v64, v24, v21
	v_mul_f16_e32 v66, 0x3853, v65
	v_add_f16_e32 v63, v17, v63
	v_fma_f16 v67, v64, s3, v66
	v_sub_f16_e32 v68, v38, v44
	s_mov_b32 s4, 0xb93d
	v_add_f16_e32 v63, v67, v63
	v_add_f16_e32 v67, v23, v22
	v_mul_f16_e32 v69, 0xba0c, v68
	v_fma_f16 v70, v67, s4, v69
	v_sub_f16_e32 v71, v36, v43
	s_movk_i32 s5, 0x36a6
	v_add_f16_e32 v63, v70, v63
	v_add_f16_e32 v70, v26, v19
	v_mul_f16_e32 v72, 0x3b47, v71
	v_fma_f16 v73, v70, s5, v72
	v_sub_f16_e32 v74, v40, v41
	s_mov_b32 s15, 0xb08e
	v_add_f16_e32 v63, v73, v63
	v_add_f16_e32 v73, v25, v20
	v_mul_f16_e32 v75, 0xbbeb, v74
	v_fma_f16 v76, v73, s15, v75
	v_add_f16_e32 v63, v76, v63
	v_mul_f16_e32 v76, 0xb93d, v39
	s_mov_b32 s21, 0xbbeb
	v_fma_f16 v77, v46, s22, v76
	v_mul_f16_e32 v78, 0xb08e, v48
	v_add_f16_e32 v77, v34, v77
	v_fma_f16 v79, v50, s21, v78
	s_movk_i32 s20, 0x3853
	v_add_f16_e32 v77, v79, v77
	v_mul_f16_e32 v79, 0x3abb, v51
	v_fma_f16 v80, v53, s20, v79
	v_add_f16_e32 v77, v80, v77
	v_mul_f16_e32 v80, 0xbbad, v54
	v_fma_f16 v81, v56, s16, v80
	;; [unrolled: 3-line block ×4, first 2 shown]
	v_mul_f16_e32 v84, 0x3beb, v65
	v_add_f16_e32 v83, v17, v83
	v_fma_f16 v85, v64, s15, v84
	v_add_f16_e32 v83, v85, v83
	v_mul_f16_e32 v85, 0xb853, v68
	v_fma_f16 v86, v67, s3, v85
	v_add_f16_e32 v83, v86, v83
	v_mul_f16_e32 v86, 0xb482, v71
	v_fma_f16 v87, v70, s2, v86
	v_add_f16_e32 v83, v87, v83
	v_mul_f16_e32 v87, 0x3b47, v74
	v_fma_f16 v88, v73, s5, v87
	v_add_f16_e32 v83, v88, v83
	v_mul_f16_e32 v88, 0xb08e, v39
	s_mov_b32 s18, 0xb482
	v_fma_f16 v89, v46, s19, v88
	v_mul_f16_e32 v90, 0xbbad, v48
	v_add_f16_e32 v89, v34, v89
	v_fma_f16 v91, v50, s18, v90
	v_add_f16_e32 v89, v91, v89
	v_mul_f16_e32 v91, 0x36a6, v51
	v_fma_f16 v92, v53, s17, v91
	v_add_f16_e32 v89, v92, v89
	v_mul_f16_e32 v92, 0x3abb, v54
	v_add_f16_e32 v18, v18, v17
	v_fma_f16 v93, v56, s20, v92
	v_add_f16_e32 v18, v21, v18
	v_mul_f16_e32 v21, 0xb93d, v57
	v_add_f16_e32 v89, v93, v89
	v_add_f16_e32 v18, v22, v18
	v_fma_f16 v22, v59, s22, v21
	v_add_f16_e32 v22, v22, v89
	v_mul_f16_e32 v89, 0xbbeb, v61
	v_add_f16_e32 v18, v19, v18
	v_add_f16_e32 v18, v20, v18
	v_fma_f16 v19, v60, s15, v89
	v_mul_f16_e32 v20, 0x3482, v65
	v_add_f16_e32 v19, v17, v19
	v_fma_f16 v93, v64, s2, v20
	v_add_f16_e32 v18, v25, v18
	v_mul_f16_e32 v25, 0x3b47, v68
	v_add_f16_e32 v19, v93, v19
	v_add_f16_e32 v18, v26, v18
	v_fma_f16 v26, v67, s5, v25
	v_add_f16_e32 v19, v26, v19
	v_mul_f16_e32 v26, 0xb853, v71
	v_fma_f16 v93, v70, s3, v26
	v_add_f16_e32 v18, v23, v18
	v_mul_f16_e32 v23, 0xba0c, v74
	v_add_f16_e32 v19, v93, v19
	v_add_f16_e32 v18, v24, v18
	v_fma_f16 v24, v73, s4, v23
	s_movk_i32 s23, 0x3b47
	v_add_f16_e32 v19, v24, v19
	v_mul_f16_e32 v24, 0x36a6, v39
	v_fma_f16 v93, v46, s23, v24
	v_mul_f16_e32 v94, 0xb93d, v48
	v_add_f16_e32 v93, v34, v93
	v_fma_f16 v95, v50, s22, v94
	v_add_f16_e32 v93, v95, v93
	v_mul_f16_e32 v95, 0xbbad, v51
	v_fma_f16 v96, v53, s18, v95
	v_add_f16_e32 v93, v96, v93
	v_mul_f16_e32 v96, 0xb08e, v54
	;; [unrolled: 3-line block ×4, first 2 shown]
	v_fma_f16 v99, v60, s5, v98
	v_mul_f16_e32 v100, 0xba0c, v65
	v_add_f16_e32 v99, v17, v99
	v_fma_f16 v101, v64, s4, v100
	v_add_f16_e32 v18, v31, v18
	v_add_f16_e32 v31, v35, v34
	;; [unrolled: 1-line block ×3, first 2 shown]
	v_mul_f16_e32 v101, 0x3482, v68
	v_add_f16_e32 v31, v37, v31
	v_fma_f16 v102, v67, s2, v101
	v_add_f16_e32 v31, v38, v31
	v_add_f16_e32 v99, v102, v99
	v_mul_f16_e32 v102, 0x3beb, v71
	v_add_f16_e32 v31, v36, v31
	v_fma_f16 v103, v70, s15, v102
	v_add_f16_e32 v31, v40, v31
	v_add_f16_e32 v99, v103, v99
	v_mul_f16_e32 v103, 0x3853, v74
	v_add_f16_e32 v31, v41, v31
	v_fma_f16 v104, v73, s3, v103
	v_mul_f16_e32 v39, 0x3abb, v39
	v_add_f16_e32 v31, v43, v31
	v_add_f16_e32 v99, v104, v99
	v_fma_f16 v104, v46, s20, v39
	v_mul_f16_e32 v48, 0x36a6, v48
	v_add_f16_e32 v31, v44, v31
	;; [unrolled: 4-line block ×4, first 2 shown]
	v_fma_f16 v31, v46, s18, v45
	v_add_f16_e32 v104, v105, v104
	v_fma_f16 v105, v56, s22, v54
	v_add_f16_e32 v31, v34, v31
	v_fma_f16 v35, v50, s20, v49
	s_mov_b32 s22, 0xba0c
	v_add_f16_e32 v31, v35, v31
	v_fma_f16 v35, v53, s22, v52
	v_add_f16_e32 v31, v35, v31
	v_fma_f16 v35, v56, s23, v55
	v_add_f16_e32 v31, v35, v31
	v_fma_f16 v35, v59, s21, v58
	v_add_f16_e32 v31, v35, v31
	v_fma_f16 v35, v60, s2, -v62
	v_add_f16_e32 v35, v17, v35
	v_fma_f16 v36, v64, s3, -v66
	v_add_f16_e32 v35, v36, v35
	v_fma_f16 v36, v67, s4, -v69
	v_add_f16_e32 v35, v36, v35
	v_fma_f16 v36, v70, s5, -v72
	v_add_f16_e32 v35, v36, v35
	v_fma_f16 v36, v73, s15, -v75
	v_add_f16_e32 v35, v36, v35
	v_fma_f16 v36, v46, s22, v76
	v_add_f16_e32 v36, v34, v36
	v_fma_f16 v37, v50, s19, v78
	v_add_f16_e32 v36, v37, v36
	v_fma_f16 v37, v53, s14, v79
	v_add_f16_e32 v36, v37, v36
	v_fma_f16 v37, v56, s18, v80
	v_add_f16_e32 v36, v37, v36
	v_fma_f16 v37, v59, s23, v81
	v_add_f16_e32 v36, v37, v36
	v_fma_f16 v37, v60, s4, -v82
	v_add_f16_e32 v37, v17, v37
	v_fma_f16 v38, v64, s15, -v84
	v_add_f16_e32 v37, v38, v37
	v_fma_f16 v38, v67, s3, -v85
	v_add_f16_e32 v37, v38, v37
	v_fma_f16 v38, v70, s2, -v86
	v_add_f16_e32 v37, v38, v37
	v_fma_f16 v38, v73, s5, -v87
	v_add_f16_e32 v37, v38, v37
	v_fma_f16 v38, v46, s21, v88
	v_add_f16_e32 v38, v34, v38
	v_fma_f16 v40, v50, s16, v90
	;; [unrolled: 20-line block ×4, first 2 shown]
	v_mul_f16_e32 v57, 0xbbad, v57
	v_add_f16_e32 v25, v26, v25
	v_fma_f16 v26, v53, s21, v51
	v_add_f16_e32 v104, v105, v104
	v_fma_f16 v105, v59, s16, v57
	v_mul_f16_e32 v61, 0xb853, v61
	v_add_f16_e32 v25, v26, v25
	v_fma_f16 v26, v56, s22, v54
	v_add_f16_e32 v104, v105, v104
	v_fma_f16 v105, v60, s3, v61
	v_mul_f16_e32 v65, 0xbb47, v65
	v_add_f16_e32 v25, v26, v25
	v_fma_f16 v26, v59, s18, v57
	v_add_f16_e32 v105, v17, v105
	v_fma_f16 v106, v64, s5, v65
	v_mul_f16_e32 v68, 0xbbeb, v68
	v_add_f16_e32 v25, v26, v25
	v_fma_f16 v26, v60, s3, -v61
	v_add_f16_e32 v105, v106, v105
	v_fma_f16 v106, v67, s15, v68
	v_mul_f16_e32 v71, 0xba0c, v71
	v_add_f16_e32 v17, v17, v26
	v_fma_f16 v26, v64, s5, -v65
	v_add_f16_e32 v105, v106, v105
	v_fma_f16 v106, v70, s4, v71
	v_mul_f16_e32 v74, 0xb482, v74
	v_add_f16_e32 v17, v26, v17
	v_fma_f16 v26, v67, s15, -v68
	v_add_f16_e32 v105, v106, v105
	v_fma_f16 v106, v73, s2, v74
	v_add_f16_e32 v17, v26, v17
	v_fma_f16 v26, v70, s4, -v71
	v_add_f16_e32 v105, v106, v105
	v_add_f16_e32 v17, v26, v17
	v_fma_f16 v26, v73, s2, -v74
	v_add_f16_e32 v17, v26, v17
	v_lshlrev_b32_e32 v26, 2, v29
	v_pack_b32_f16 v29, v105, v104
	v_pack_b32_f16 v18, v18, v30
	ds_write2_b32 v26, v18, v29 offset1:1
	v_pack_b32_f16 v18, v19, v22
	v_pack_b32_f16 v19, v99, v93
	ds_write2_b32 v26, v19, v18 offset0:2 offset1:3
	v_pack_b32_f16 v18, v63, v47
	v_pack_b32_f16 v19, v83, v77
	ds_write2_b32 v26, v19, v18 offset0:4 offset1:5
	;; [unrolled: 3-line block ×3, first 2 shown]
	v_pack_b32_f16 v18, v24, v23
	v_pack_b32_f16 v19, v20, v21
	;; [unrolled: 1-line block ×3, first 2 shown]
	ds_write2_b32 v26, v19, v18 offset0:8 offset1:9
	ds_write_b32 v26, v17 offset:40
.LBB0_13:
	s_or_b64 exec, exec, s[0:1]
	s_waitcnt lgkmcnt(0)
	; wave barrier
	s_waitcnt lgkmcnt(0)
	ds_read2_b32 v[19:20], v27 offset1:55
	ds_read2_b32 v[21:22], v27 offset0:110 offset1:165
	v_add_u32_e32 v18, 0x200, v27
	ds_read2_b32 v[23:24], v18 offset0:92 offset1:147
	v_add_u32_e32 v17, 0x400, v27
	s_waitcnt lgkmcnt(2)
	v_lshrrev_b32_e32 v34, 16, v20
	v_mul_f16_sdwa v43, v0, v34 dst_sel:DWORD dst_unused:UNUSED_PAD src0_sel:WORD_1 src1_sel:DWORD
	s_waitcnt lgkmcnt(1)
	v_lshrrev_b32_e32 v35, 16, v21
	v_fma_f16 v43, v0, v20, v43
	v_mul_f16_sdwa v20, v0, v20 dst_sel:DWORD dst_unused:UNUSED_PAD src0_sel:WORD_1 src1_sel:DWORD
	v_fma_f16 v0, v0, v34, -v20
	v_mul_f16_sdwa v20, v1, v35 dst_sel:DWORD dst_unused:UNUSED_PAD src0_sel:WORD_1 src1_sel:DWORD
	v_lshrrev_b32_e32 v36, 16, v22
	v_fma_f16 v20, v1, v21, v20
	v_mul_f16_sdwa v21, v1, v21 dst_sel:DWORD dst_unused:UNUSED_PAD src0_sel:WORD_1 src1_sel:DWORD
	ds_read2_b32 v[25:26], v17 offset0:74 offset1:129
	v_fma_f16 v1, v1, v35, -v21
	v_mul_f16_sdwa v21, v2, v36 dst_sel:DWORD dst_unused:UNUSED_PAD src0_sel:WORD_1 src1_sel:DWORD
	s_waitcnt lgkmcnt(1)
	v_lshrrev_b32_e32 v37, 16, v23
	v_fma_f16 v21, v2, v22, v21
	v_mul_f16_sdwa v22, v2, v22 dst_sel:DWORD dst_unused:UNUSED_PAD src0_sel:WORD_1 src1_sel:DWORD
	v_fma_f16 v2, v2, v36, -v22
	v_mul_f16_sdwa v22, v3, v37 dst_sel:DWORD dst_unused:UNUSED_PAD src0_sel:WORD_1 src1_sel:DWORD
	v_lshrrev_b32_e32 v38, 16, v24
	v_fma_f16 v22, v3, v23, v22
	v_mul_f16_sdwa v23, v3, v23 dst_sel:DWORD dst_unused:UNUSED_PAD src0_sel:WORD_1 src1_sel:DWORD
	ds_read2_b32 v[29:30], v17 offset0:184 offset1:239
	v_fma_f16 v3, v3, v37, -v23
	v_mul_f16_sdwa v23, v4, v38 dst_sel:DWORD dst_unused:UNUSED_PAD src0_sel:WORD_1 src1_sel:DWORD
	s_waitcnt lgkmcnt(1)
	v_lshrrev_b32_e32 v39, 16, v25
	v_fma_f16 v23, v4, v24, v23
	v_mul_f16_sdwa v24, v4, v24 dst_sel:DWORD dst_unused:UNUSED_PAD src0_sel:WORD_1 src1_sel:DWORD
	v_fma_f16 v4, v4, v38, -v24
	v_mul_f16_sdwa v24, v5, v39 dst_sel:DWORD dst_unused:UNUSED_PAD src0_sel:WORD_1 src1_sel:DWORD
	v_lshrrev_b32_e32 v40, 16, v26
	v_fma_f16 v24, v5, v25, v24
	v_mul_f16_sdwa v25, v5, v25 dst_sel:DWORD dst_unused:UNUSED_PAD src0_sel:WORD_1 src1_sel:DWORD
	v_fma_f16 v5, v5, v39, -v25
	v_mul_f16_sdwa v25, v6, v40 dst_sel:DWORD dst_unused:UNUSED_PAD src0_sel:WORD_1 src1_sel:DWORD
	s_waitcnt lgkmcnt(0)
	v_lshrrev_b32_e32 v41, 16, v29
	v_fma_f16 v25, v6, v26, v25
	v_mul_f16_sdwa v26, v6, v26 dst_sel:DWORD dst_unused:UNUSED_PAD src0_sel:WORD_1 src1_sel:DWORD
	v_fma_f16 v6, v6, v40, -v26
	v_mul_f16_sdwa v26, v7, v41 dst_sel:DWORD dst_unused:UNUSED_PAD src0_sel:WORD_1 src1_sel:DWORD
	v_fma_f16 v26, v7, v29, v26
	v_mul_f16_sdwa v29, v7, v29 dst_sel:DWORD dst_unused:UNUSED_PAD src0_sel:WORD_1 src1_sel:DWORD
	v_fma_f16 v7, v7, v41, -v29
	v_add_f16_e32 v34, v22, v24
	v_fma_f16 v34, v34, -0.5, v19
	v_sub_f16_e32 v35, v1, v7
	s_mov_b32 s1, 0xbb9c
	s_movk_i32 s3, 0x3b9c
	v_lshrrev_b32_e32 v42, 16, v30
	v_fma_f16 v36, v35, s1, v34
	v_sub_f16_e32 v37, v3, v5
	s_mov_b32 s0, 0xb8b4
	v_sub_f16_e32 v38, v20, v22
	v_sub_f16_e32 v39, v26, v24
	v_fma_f16 v34, v35, s3, v34
	s_movk_i32 s4, 0x38b4
	v_mul_f16_sdwa v29, v32, v42 dst_sel:DWORD dst_unused:UNUSED_PAD src0_sel:WORD_1 src1_sel:DWORD
	v_fma_f16 v36, v37, s0, v36
	v_add_f16_e32 v38, v38, v39
	s_movk_i32 s2, 0x34f2
	v_fma_f16 v34, v37, s4, v34
	v_fma_f16 v29, v32, v30, v29
	v_mul_f16_sdwa v30, v32, v30 dst_sel:DWORD dst_unused:UNUSED_PAD src0_sel:WORD_1 src1_sel:DWORD
	v_fma_f16 v36, v38, s2, v36
	v_fma_f16 v34, v38, s2, v34
	v_add_f16_e32 v38, v20, v26
	v_lshrrev_b32_e32 v31, 16, v19
	v_fma_f16 v30, v32, v42, -v30
	v_add_f16_e32 v32, v19, v20
	v_fma_f16 v19, v38, -0.5, v19
	v_add_f16_e32 v32, v32, v22
	v_fma_f16 v38, v37, s3, v19
	v_fma_f16 v19, v37, s1, v19
	v_add_f16_e32 v37, v3, v5
	v_add_f16_e32 v32, v32, v24
	v_sub_f16_e32 v39, v22, v20
	v_sub_f16_e32 v40, v24, v26
	v_fma_f16 v37, v37, -0.5, v31
	v_sub_f16_e32 v20, v20, v26
	v_add_f16_e32 v32, v32, v26
	v_fma_f16 v38, v35, s0, v38
	v_add_f16_e32 v39, v39, v40
	v_fma_f16 v19, v35, s4, v19
	v_fma_f16 v26, v20, s3, v37
	v_sub_f16_e32 v22, v22, v24
	v_fma_f16 v38, v39, s2, v38
	v_fma_f16 v19, v39, s2, v19
	;; [unrolled: 1-line block ×3, first 2 shown]
	v_sub_f16_e32 v26, v1, v3
	v_sub_f16_e32 v39, v7, v5
	v_fma_f16 v37, v20, s1, v37
	v_add_f16_e32 v35, v31, v1
	v_add_f16_e32 v26, v26, v39
	v_fma_f16 v37, v22, s0, v37
	v_add_f16_e32 v35, v35, v3
	v_fma_f16 v24, v26, s2, v24
	v_fma_f16 v26, v26, s2, v37
	v_add_f16_e32 v37, v1, v7
	v_add_f16_e32 v35, v35, v5
	v_fma_f16 v31, v37, -0.5, v31
	v_add_f16_e32 v35, v35, v7
	v_fma_f16 v37, v22, s1, v31
	v_sub_f16_e32 v1, v3, v1
	v_sub_f16_e32 v3, v5, v7
	v_fma_f16 v5, v22, s3, v31
	v_add_f16_e32 v7, v23, v25
	v_fma_f16 v37, v20, s4, v37
	v_add_f16_e32 v1, v1, v3
	v_fma_f16 v5, v20, s0, v5
	v_fma_f16 v7, v7, -0.5, v43
	v_sub_f16_e32 v20, v2, v30
	v_fma_f16 v3, v1, s2, v37
	v_fma_f16 v22, v20, s1, v7
	v_sub_f16_e32 v31, v4, v6
	v_sub_f16_e32 v37, v21, v23
	;; [unrolled: 1-line block ×3, first 2 shown]
	v_fma_f16 v7, v20, s3, v7
	v_fma_f16 v22, v31, s0, v22
	v_add_f16_e32 v37, v37, v39
	v_fma_f16 v7, v31, s4, v7
	v_fma_f16 v22, v37, s2, v22
	v_fma_f16 v7, v37, s2, v7
	v_add_f16_e32 v37, v21, v29
	v_fma_f16 v1, v1, s2, v5
	v_add_f16_e32 v5, v43, v21
	v_fma_f16 v37, v37, -0.5, v43
	v_add_f16_e32 v5, v5, v23
	v_fma_f16 v39, v31, s3, v37
	v_fma_f16 v31, v31, s1, v37
	v_add_f16_e32 v37, v4, v6
	v_add_f16_e32 v5, v5, v25
	v_sub_f16_e32 v40, v23, v21
	v_sub_f16_e32 v41, v25, v29
	v_fma_f16 v37, v37, -0.5, v0
	v_sub_f16_e32 v21, v21, v29
	v_add_f16_e32 v5, v5, v29
	v_fma_f16 v39, v20, s0, v39
	v_add_f16_e32 v40, v40, v41
	v_fma_f16 v20, v20, s4, v31
	v_fma_f16 v29, v21, s3, v37
	v_sub_f16_e32 v23, v23, v25
	v_fma_f16 v39, v40, s2, v39
	v_fma_f16 v20, v40, s2, v20
	;; [unrolled: 1-line block ×3, first 2 shown]
	v_sub_f16_e32 v29, v2, v4
	v_sub_f16_e32 v40, v30, v6
	v_fma_f16 v37, v21, s1, v37
	v_add_f16_e32 v29, v29, v40
	v_fma_f16 v37, v23, s0, v37
	v_fma_f16 v25, v29, s2, v25
	;; [unrolled: 1-line block ×3, first 2 shown]
	v_add_f16_e32 v37, v2, v30
	v_add_f16_e32 v31, v0, v2
	v_fma_f16 v0, v37, -0.5, v0
	v_add_f16_e32 v31, v31, v4
	v_fma_f16 v37, v23, s1, v0
	v_sub_f16_e32 v2, v4, v2
	v_sub_f16_e32 v4, v6, v30
	v_fma_f16 v0, v23, s3, v0
	v_fma_f16 v37, v21, s4, v37
	v_add_f16_e32 v2, v2, v4
	v_fma_f16 v0, v21, s0, v0
	v_add_f16_e32 v31, v31, v6
	v_fma_f16 v4, v2, s2, v37
	v_fma_f16 v0, v2, s2, v0
	v_mul_f16_e32 v6, 0xb8b4, v25
	s_movk_i32 s5, 0x3a79
	v_mul_f16_e32 v25, 0x3a79, v25
	v_add_f16_e32 v31, v31, v30
	v_fma_f16 v6, v22, s5, v6
	v_mul_f16_e32 v23, 0xbb9c, v4
	v_mul_f16_e32 v37, 0xbb9c, v0
	s_mov_b32 s5, 0xb4f2
	v_fma_f16 v22, v22, s4, v25
	v_mul_f16_e32 v4, 0x34f2, v4
	v_mul_f16_e32 v0, 0xb4f2, v0
	v_add_f16_e32 v2, v32, v5
	v_add_f16_e32 v21, v36, v6
	v_fma_f16 v23, v39, s2, v23
	v_fma_f16 v37, v20, s5, v37
	v_mul_f16_e32 v41, 0xb8b4, v29
	s_mov_b32 s5, 0xba79
	v_add_f16_e32 v43, v35, v31
	v_add_f16_e32 v25, v24, v22
	v_fma_f16 v4, v39, s3, v4
	v_fma_f16 v0, v20, s3, v0
	v_mul_f16_e32 v29, 0xba79, v29
	v_add_f16_e32 v30, v38, v23
	v_add_f16_e32 v40, v19, v37
	v_fma_f16 v41, v7, s5, v41
	v_add_f16_e32 v39, v3, v4
	v_add_f16_e32 v20, v1, v0
	v_fma_f16 v7, v7, s4, v29
	v_sub_f16_e32 v3, v3, v4
	v_pack_b32_f16 v2, v2, v43
	v_pack_b32_f16 v4, v21, v25
	v_add_f16_e32 v42, v34, v41
	v_add_f16_e32 v29, v26, v7
	v_sub_f16_e32 v5, v32, v5
	v_sub_f16_e32 v31, v35, v31
	s_waitcnt lgkmcnt(0)
	; wave barrier
	ds_write2_b32 v33, v2, v4 offset1:11
	v_pack_b32_f16 v2, v30, v39
	v_pack_b32_f16 v4, v40, v20
	v_sub_f16_e32 v6, v36, v6
	v_sub_f16_e32 v23, v38, v23
	;; [unrolled: 1-line block ×7, first 2 shown]
	ds_write2_b32 v33, v2, v4 offset0:22 offset1:33
	v_pack_b32_f16 v2, v42, v29
	v_pack_b32_f16 v4, v5, v31
	ds_write2_b32 v33, v2, v4 offset0:44 offset1:55
	v_pack_b32_f16 v2, v6, v22
	v_pack_b32_f16 v3, v23, v3
	v_pack_b32_f16 v0, v19, v0
	v_pack_b32_f16 v1, v32, v1
	ds_write2_b32 v33, v2, v3 offset0:66 offset1:77
	ds_write2_b32 v33, v0, v1 offset0:88 offset1:99
	s_waitcnt lgkmcnt(0)
	; wave barrier
	s_waitcnt lgkmcnt(0)
	ds_read2_b32 v[0:1], v27 offset1:55
	ds_read2_b32 v[2:3], v27 offset0:110 offset1:165
	ds_read2_b32 v[4:5], v18 offset0:92 offset1:147
	;; [unrolled: 1-line block ×4, first 2 shown]
	s_waitcnt lgkmcnt(4)
	v_lshrrev_b32_e32 v21, 16, v0
	s_waitcnt lgkmcnt(3)
	v_lshrrev_b32_e32 v22, 16, v2
	v_mul_f16_sdwa v33, v8, v22 dst_sel:DWORD dst_unused:UNUSED_PAD src0_sel:WORD_1 src1_sel:DWORD
	s_waitcnt lgkmcnt(2)
	v_lshrrev_b32_e32 v23, 16, v4
	v_fma_f16 v33, v8, v2, v33
	v_mul_f16_sdwa v2, v8, v2 dst_sel:DWORD dst_unused:UNUSED_PAD src0_sel:WORD_1 src1_sel:DWORD
	v_fma_f16 v2, v8, v22, -v2
	v_mul_f16_sdwa v8, v9, v23 dst_sel:DWORD dst_unused:UNUSED_PAD src0_sel:WORD_1 src1_sel:DWORD
	s_waitcnt lgkmcnt(1)
	v_lshrrev_b32_e32 v24, 16, v6
	v_fma_f16 v8, v9, v4, v8
	v_mul_f16_sdwa v4, v9, v4 dst_sel:DWORD dst_unused:UNUSED_PAD src0_sel:WORD_1 src1_sel:DWORD
	v_fma_f16 v4, v9, v23, -v4
	;; [unrolled: 6-line block ×3, first 2 shown]
	v_mul_f16_sdwa v10, v11, v25 dst_sel:DWORD dst_unused:UNUSED_PAD src0_sel:WORD_1 src1_sel:DWORD
	v_lshrrev_b32_e32 v29, 16, v3
	v_fma_f16 v10, v11, v19, v10
	v_mul_f16_sdwa v19, v11, v19 dst_sel:DWORD dst_unused:UNUSED_PAD src0_sel:WORD_1 src1_sel:DWORD
	v_fma_f16 v11, v11, v25, -v19
	v_mul_f16_sdwa v19, v12, v29 dst_sel:DWORD dst_unused:UNUSED_PAD src0_sel:WORD_1 src1_sel:DWORD
	v_lshrrev_b32_e32 v30, 16, v5
	v_fma_f16 v19, v12, v3, v19
	v_mul_f16_sdwa v3, v12, v3 dst_sel:DWORD dst_unused:UNUSED_PAD src0_sel:WORD_1 src1_sel:DWORD
	v_fma_f16 v3, v12, v29, -v3
	;; [unrolled: 5-line block ×3, first 2 shown]
	v_mul_f16_sdwa v13, v14, v31 dst_sel:DWORD dst_unused:UNUSED_PAD src0_sel:WORD_1 src1_sel:DWORD
	v_add_f16_e32 v22, v8, v9
	v_lshrrev_b32_e32 v32, 16, v20
	v_fma_f16 v13, v14, v7, v13
	v_mul_f16_sdwa v7, v14, v7 dst_sel:DWORD dst_unused:UNUSED_PAD src0_sel:WORD_1 src1_sel:DWORD
	v_fma_f16 v22, v22, -0.5, v0
	v_sub_f16_e32 v23, v2, v11
	v_fma_f16 v7, v14, v31, -v7
	v_mul_f16_sdwa v14, v15, v32 dst_sel:DWORD dst_unused:UNUSED_PAD src0_sel:WORD_1 src1_sel:DWORD
	v_fma_f16 v24, v23, s1, v22
	v_sub_f16_e32 v25, v4, v6
	v_sub_f16_e32 v29, v33, v8
	;; [unrolled: 1-line block ×3, first 2 shown]
	v_fma_f16 v22, v23, s3, v22
	v_fma_f16 v14, v15, v20, v14
	v_mul_f16_sdwa v20, v15, v20 dst_sel:DWORD dst_unused:UNUSED_PAD src0_sel:WORD_1 src1_sel:DWORD
	v_fma_f16 v24, v25, s0, v24
	v_add_f16_e32 v29, v29, v30
	v_fma_f16 v22, v25, s4, v22
	v_fma_f16 v15, v15, v32, -v20
	v_add_f16_e32 v20, v0, v33
	v_fma_f16 v24, v29, s2, v24
	v_fma_f16 v22, v29, s2, v22
	v_add_f16_e32 v29, v33, v10
	v_add_f16_e32 v20, v20, v8
	v_fma_f16 v0, v29, -0.5, v0
	v_add_f16_e32 v20, v20, v9
	v_fma_f16 v29, v25, s3, v0
	v_sub_f16_e32 v30, v8, v33
	v_sub_f16_e32 v31, v9, v10
	v_fma_f16 v0, v25, s1, v0
	v_add_f16_e32 v25, v4, v6
	v_add_f16_e32 v20, v20, v10
	v_fma_f16 v29, v23, s0, v29
	v_add_f16_e32 v30, v30, v31
	v_fma_f16 v0, v23, s4, v0
	v_fma_f16 v25, v25, -0.5, v21
	v_sub_f16_e32 v10, v33, v10
	v_fma_f16 v29, v30, s2, v29
	v_fma_f16 v0, v30, s2, v0
	;; [unrolled: 1-line block ×3, first 2 shown]
	v_sub_f16_e32 v8, v8, v9
	v_fma_f16 v9, v8, s4, v30
	v_sub_f16_e32 v30, v2, v4
	v_sub_f16_e32 v31, v11, v6
	v_fma_f16 v25, v10, s1, v25
	v_add_f16_e32 v30, v30, v31
	v_fma_f16 v25, v8, s0, v25
	v_add_f16_e32 v23, v21, v2
	v_fma_f16 v9, v30, s2, v9
	v_fma_f16 v25, v30, s2, v25
	v_add_f16_e32 v30, v2, v11
	v_add_f16_e32 v23, v23, v4
	v_fma_f16 v21, v30, -0.5, v21
	v_add_f16_e32 v23, v23, v6
	v_fma_f16 v30, v8, s1, v21
	v_sub_f16_e32 v2, v4, v2
	v_sub_f16_e32 v4, v6, v11
	v_fma_f16 v6, v8, s3, v21
	v_add_f16_e32 v8, v12, v13
	v_fma_f16 v30, v10, s4, v30
	v_add_f16_e32 v2, v2, v4
	v_fma_f16 v6, v10, s0, v6
	v_fma_f16 v8, v8, -0.5, v1
	v_sub_f16_e32 v10, v3, v15
	v_add_f16_e32 v23, v23, v11
	v_fma_f16 v4, v2, s2, v30
	v_fma_f16 v11, v10, s1, v8
	v_sub_f16_e32 v21, v5, v7
	v_sub_f16_e32 v30, v19, v12
	;; [unrolled: 1-line block ×3, first 2 shown]
	v_fma_f16 v8, v10, s3, v8
	v_fma_f16 v11, v21, s0, v11
	v_add_f16_e32 v30, v30, v31
	v_fma_f16 v8, v21, s4, v8
	v_fma_f16 v2, v2, s2, v6
	v_add_f16_e32 v6, v1, v19
	;; [unrolled: 3-line block ×3, first 2 shown]
	v_lshrrev_b32_e32 v26, 16, v1
	v_add_f16_e32 v6, v6, v12
	v_fma_f16 v1, v30, -0.5, v1
	v_add_f16_e32 v6, v6, v13
	v_fma_f16 v30, v21, s3, v1
	v_fma_f16 v1, v21, s1, v1
	v_add_f16_e32 v21, v5, v7
	v_add_f16_e32 v6, v6, v14
	v_sub_f16_e32 v31, v12, v19
	v_sub_f16_e32 v32, v13, v14
	v_fma_f16 v21, v21, -0.5, v26
	v_sub_f16_e32 v14, v19, v14
	v_fma_f16 v30, v10, s0, v30
	v_add_f16_e32 v31, v31, v32
	v_fma_f16 v1, v10, s4, v1
	v_fma_f16 v19, v14, s3, v21
	v_sub_f16_e32 v12, v12, v13
	v_fma_f16 v30, v31, s2, v30
	v_fma_f16 v1, v31, s2, v1
	;; [unrolled: 1-line block ×3, first 2 shown]
	v_sub_f16_e32 v19, v3, v5
	v_sub_f16_e32 v31, v15, v7
	v_fma_f16 v21, v14, s1, v21
	v_add_f16_e32 v19, v19, v31
	v_fma_f16 v21, v12, s0, v21
	v_add_f16_e32 v10, v26, v3
	v_fma_f16 v13, v19, s2, v13
	v_fma_f16 v19, v19, s2, v21
	v_add_f16_e32 v21, v3, v15
	v_add_f16_e32 v10, v10, v5
	v_fma_f16 v21, v21, -0.5, v26
	v_add_f16_e32 v10, v10, v7
	v_fma_f16 v26, v12, s1, v21
	v_sub_f16_e32 v3, v5, v3
	v_sub_f16_e32 v5, v7, v15
	v_fma_f16 v7, v12, s3, v21
	v_fma_f16 v26, v14, s4, v26
	v_add_f16_e32 v3, v3, v5
	v_fma_f16 v7, v14, s0, v7
	v_add_f16_e32 v10, v10, v15
	v_fma_f16 v5, v3, s2, v26
	v_fma_f16 v3, v3, s2, v7
	v_pack_b32_f16 v7, v20, v23
	v_pack_b32_f16 v0, v0, v2
	;; [unrolled: 1-line block ×7, first 2 shown]
	ds_write2_b32 v27, v7, v6 offset1:55
	v_pack_b32_f16 v6, v11, v13
	v_pack_b32_f16 v5, v30, v5
	ds_write2_b32 v17, v0, v1 offset0:74 offset1:129
	v_pack_b32_f16 v0, v8, v19
	ds_write2_b32 v27, v9, v6 offset0:110 offset1:165
	ds_write2_b32 v18, v4, v5 offset0:92 offset1:147
	;; [unrolled: 1-line block ×3, first 2 shown]
	s_waitcnt lgkmcnt(0)
	; wave barrier
	s_waitcnt lgkmcnt(0)
	s_and_b64 exec, exec, vcc
	s_cbranch_execz .LBB0_15
; %bb.14:
	global_load_dword v7, v27, s[6:7]
	global_load_dword v6, v27, s[6:7] offset:200
	ds_read_b32 v19, v27
	v_mad_u64_u32 v[12:13], s[0:1], s10, v16, 0
	v_mad_u64_u32 v[2:3], s[0:1], s8, v28, 0
	v_mov_b32_e32 v4, 0x7c00
	v_mad_u64_u32 v[13:14], s[0:1], s11, v16, v[13:14]
	s_waitcnt lgkmcnt(0)
	v_lshrrev_b32_e32 v16, 16, v19
	v_mad_u64_u32 v[14:15], s[0:1], s9, v28, v[3:4]
	ds_read2_b32 v[0:1], v27 offset0:50 offset1:100
	s_mov_b32 s14, 0xdca01dca
	s_mov_b32 s15, 0x3f5dca01
	s_movk_i32 s18, 0x1ff
	global_load_dword v8, v27, s[6:7] offset:400
	global_load_dword v9, v27, s[6:7] offset:600
	;; [unrolled: 1-line block ×5, first 2 shown]
	s_waitcnt lgkmcnt(0)
	v_lshrrev_b32_e32 v23, 16, v0
	s_movk_i32 s17, 0xffe
	s_movk_i32 s16, 0x40f
	s_mov_b32 s10, 0x8000
	v_lshlrev_b64 v[12:13], 2, v[12:13]
	s_waitcnt vmcnt(6)
	v_mul_f16_sdwa v3, v16, v7 dst_sel:DWORD dst_unused:UNUSED_PAD src0_sel:DWORD src1_sel:WORD_1
	v_fma_f16 v3, v19, v7, v3
	v_mul_f16_sdwa v15, v19, v7 dst_sel:DWORD dst_unused:UNUSED_PAD src0_sel:DWORD src1_sel:WORD_1
	v_cvt_f32_f16_e32 v3, v3
	v_fma_f16 v7, v7, v16, -v15
	v_cvt_f32_f16_e32 v7, v7
	v_cvt_f64_f32_e32 v[15:16], v3
	s_waitcnt vmcnt(5)
	v_mul_f16_sdwa v3, v23, v6 dst_sel:DWORD dst_unused:UNUSED_PAD src0_sel:DWORD src1_sel:WORD_1
	v_cvt_f64_f32_e32 v[19:20], v7
	v_fma_f16 v3, v0, v6, v3
	v_mul_f64 v[15:16], v[15:16], s[14:15]
	v_cvt_f32_f16_e32 v7, v3
	v_mul_f64 v[19:20], v[19:20], s[14:15]
	v_mov_b32_e32 v3, v14
	v_lshlrev_b64 v[2:3], 2, v[2:3]
	v_cvt_f64_f32_e32 v[21:22], v7
	v_mul_f16_sdwa v0, v0, v6 dst_sel:DWORD dst_unused:UNUSED_PAD src0_sel:DWORD src1_sel:WORD_1
	v_fma_f16 v0, v6, v23, -v0
	v_and_or_b32 v7, v16, s18, v15
	v_cmp_ne_u32_e32 vcc, 0, v7
	v_and_or_b32 v19, v20, s18, v19
	v_lshrrev_b32_e32 v14, 8, v16
	v_bfe_u32 v15, v16, 20, 11
	v_cndmask_b32_e64 v7, 0, 1, vcc
	v_cmp_ne_u32_e32 vcc, 0, v19
	v_lshrrev_b32_e32 v24, 8, v20
	v_bfe_u32 v25, v20, 20, 11
	v_sub_u32_e32 v26, 0x3f1, v15
	v_cndmask_b32_e64 v19, 0, 1, vcc
	v_and_or_b32 v7, v14, s17, v7
	v_sub_u32_e32 v28, 0x3f1, v25
	v_med3_i32 v14, v26, 0, 13
	v_and_or_b32 v19, v24, s17, v19
	v_or_b32_e32 v26, 0x1000, v7
	v_add_u32_e32 v15, 0xfffffc10, v15
	v_med3_i32 v24, v28, 0, 13
	v_cmp_ne_u32_e32 vcc, 0, v7
	v_or_b32_e32 v29, 0x1000, v19
	v_lshrrev_b32_e32 v31, v14, v26
	v_add_u32_e32 v25, 0xfffffc10, v25
	v_lshl_or_b32 v28, v15, 12, v7
	v_cndmask_b32_e64 v7, 0, 1, vcc
	v_cmp_ne_u32_e32 vcc, 0, v19
	v_lshrrev_b32_e32 v32, v24, v29
	v_lshlrev_b32_e32 v14, v14, v31
	v_lshl_or_b32 v30, v25, 12, v19
	v_cndmask_b32_e64 v19, 0, 1, vcc
	v_lshlrev_b32_e32 v24, v24, v32
	v_cmp_ne_u32_e32 vcc, v14, v26
	v_cndmask_b32_e64 v14, 0, 1, vcc
	v_cmp_ne_u32_e32 vcc, v24, v29
	v_cndmask_b32_e64 v24, 0, 1, vcc
	v_or_b32_e32 v14, v31, v14
	v_cmp_gt_i32_e32 vcc, 1, v15
	v_cndmask_b32_e32 v14, v28, v14, vcc
	v_or_b32_e32 v24, v32, v24
	v_cmp_gt_i32_e32 vcc, 1, v25
	v_and_b32_e32 v26, 7, v14
	v_cndmask_b32_e32 v24, v30, v24, vcc
	v_cmp_lt_i32_e32 vcc, 5, v26
	v_cmp_eq_u32_e64 s[0:1], 3, v26
	v_lshrrev_b32_e32 v14, 2, v14
	v_and_b32_e32 v28, 7, v24
	s_or_b64 vcc, s[0:1], vcc
	v_cmp_lt_i32_e64 s[2:3], 5, v28
	v_cmp_eq_u32_e64 s[4:5], 3, v28
	v_addc_co_u32_e32 v14, vcc, 0, v14, vcc
	v_lshrrev_b32_e32 v24, 2, v24
	s_or_b64 vcc, s[4:5], s[2:3]
	v_addc_co_u32_e32 v24, vcc, 0, v24, vcc
	v_cmp_gt_i32_e32 vcc, 31, v15
	v_cndmask_b32_e32 v14, v4, v14, vcc
	v_cmp_gt_i32_e32 vcc, 31, v25
	v_lshl_or_b32 v7, v7, 9, v4
	v_cndmask_b32_e32 v24, v4, v24, vcc
	v_cmp_eq_u32_e32 vcc, s16, v15
	v_lshrrev_b32_e32 v16, 16, v16
	v_lshl_or_b32 v19, v19, 9, v4
	v_cndmask_b32_e32 v7, v14, v7, vcc
	v_cmp_eq_u32_e32 vcc, s16, v25
	v_lshrrev_b32_e32 v20, 16, v20
	v_cndmask_b32_e32 v14, v24, v19, vcc
	v_and_or_b32 v7, v16, s10, v7
	v_and_or_b32 v14, v20, s10, v14
	v_and_b32_e32 v7, 0xffff, v7
	v_lshl_or_b32 v7, v14, 16, v7
	v_mul_f64 v[14:15], v[21:22], s[14:15]
	v_mov_b32_e32 v16, s13
	v_add_co_u32_e32 v12, vcc, s12, v12
	v_addc_co_u32_e32 v13, vcc, v16, v13, vcc
	v_add_co_u32_e32 v2, vcc, v12, v2
	v_addc_co_u32_e32 v3, vcc, v13, v3, vcc
	global_store_dword v[2:3], v7, off
	v_and_or_b32 v7, v15, s18, v14
	v_cmp_ne_u32_e32 vcc, 0, v7
	v_cndmask_b32_e64 v7, 0, 1, vcc
	v_lshrrev_b32_e32 v12, 8, v15
	v_bfe_u32 v13, v15, 20, 11
	v_and_or_b32 v12, v12, s17, v7
	v_sub_u32_e32 v14, 0x3f1, v13
	v_or_b32_e32 v7, 0x1000, v12
	v_med3_i32 v14, v14, 0, 13
	v_lshrrev_b32_e32 v16, v14, v7
	v_lshlrev_b32_e32 v14, v14, v16
	v_cmp_ne_u32_e32 vcc, v14, v7
	v_cndmask_b32_e64 v7, 0, 1, vcc
	v_add_u32_e32 v13, 0xfffffc10, v13
	v_cvt_f32_f16_e32 v0, v0
	v_or_b32_e32 v7, v16, v7
	v_lshl_or_b32 v14, v13, 12, v12
	v_cmp_gt_i32_e32 vcc, 1, v13
	v_cndmask_b32_e32 v7, v14, v7, vcc
	v_and_b32_e32 v14, 7, v7
	v_cmp_lt_i32_e32 vcc, 5, v14
	v_cmp_eq_u32_e64 s[0:1], 3, v14
	v_lshrrev_b32_e32 v14, 2, v7
	v_cvt_f64_f32_e32 v[6:7], v0
	s_or_b64 vcc, s[0:1], vcc
	v_addc_co_u32_e32 v0, vcc, 0, v14, vcc
	v_mul_f64 v[6:7], v[6:7], s[14:15]
	v_cmp_gt_i32_e32 vcc, 31, v13
	v_cndmask_b32_e32 v0, v4, v0, vcc
	v_cmp_ne_u32_e32 vcc, 0, v12
	v_cndmask_b32_e64 v12, 0, 1, vcc
	v_lshl_or_b32 v12, v12, 9, v4
	v_cmp_eq_u32_e32 vcc, s16, v13
	v_cndmask_b32_e32 v0, v0, v12, vcc
	v_and_or_b32 v6, v7, s18, v6
	v_lshrrev_b32_e32 v12, 16, v15
	v_cmp_ne_u32_e32 vcc, 0, v6
	v_and_or_b32 v0, v12, s10, v0
	v_cndmask_b32_e64 v6, 0, 1, vcc
	v_lshrrev_b32_e32 v12, 8, v7
	v_bfe_u32 v13, v7, 20, 11
	v_and_or_b32 v6, v12, s17, v6
	v_sub_u32_e32 v14, 0x3f1, v13
	v_or_b32_e32 v12, 0x1000, v6
	v_med3_i32 v14, v14, 0, 13
	v_lshrrev_b32_e32 v15, v14, v12
	v_lshlrev_b32_e32 v14, v14, v15
	v_cmp_ne_u32_e32 vcc, v14, v12
	v_cndmask_b32_e64 v12, 0, 1, vcc
	v_add_u32_e32 v13, 0xfffffc10, v13
	v_or_b32_e32 v12, v15, v12
	v_lshl_or_b32 v14, v13, 12, v6
	v_cmp_gt_i32_e32 vcc, 1, v13
	v_cndmask_b32_e32 v12, v14, v12, vcc
	v_and_b32_e32 v14, 7, v12
	v_cmp_lt_i32_e32 vcc, 5, v14
	v_cmp_eq_u32_e64 s[0:1], 3, v14
	v_lshrrev_b32_e32 v12, 2, v12
	s_or_b64 vcc, s[0:1], vcc
	v_addc_co_u32_e32 v12, vcc, 0, v12, vcc
	v_cmp_gt_i32_e32 vcc, 31, v13
	v_cndmask_b32_e32 v12, v4, v12, vcc
	v_cmp_ne_u32_e32 vcc, 0, v6
	v_cndmask_b32_e64 v6, 0, 1, vcc
	v_lshl_or_b32 v6, v6, 9, v4
	v_cmp_eq_u32_e32 vcc, s16, v13
	v_cndmask_b32_e32 v6, v12, v6, vcc
	v_lshrrev_b32_e32 v12, 16, v1
	s_waitcnt vmcnt(5)
	v_mul_f16_sdwa v13, v12, v8 dst_sel:DWORD dst_unused:UNUSED_PAD src0_sel:DWORD src1_sel:WORD_1
	v_fma_f16 v13, v1, v8, v13
	v_cvt_f32_f16_e32 v13, v13
	v_lshrrev_b32_e32 v7, 16, v7
	v_and_or_b32 v6, v7, s10, v6
	v_and_b32_e32 v0, 0xffff, v0
	v_lshl_or_b32 v0, v6, 16, v0
	v_cvt_f64_f32_e32 v[6:7], v13
	s_mul_i32 s0, s9, 0xc8
	s_mul_hi_u32 s2, s8, 0xc8
	s_add_i32 s2, s2, s0
	v_mul_f64 v[6:7], v[6:7], s[14:15]
	s_mul_i32 s3, s8, 0xc8
	v_mov_b32_e32 v13, s2
	v_add_co_u32_e32 v2, vcc, s3, v2
	v_addc_co_u32_e32 v3, vcc, v3, v13, vcc
	global_store_dword v[2:3], v0, off
	v_and_or_b32 v0, v7, s18, v6
	v_cmp_ne_u32_e32 vcc, 0, v0
	v_cndmask_b32_e64 v0, 0, 1, vcc
	v_lshrrev_b32_e32 v6, 8, v7
	v_bfe_u32 v13, v7, 20, 11
	v_and_or_b32 v6, v6, s17, v0
	v_sub_u32_e32 v14, 0x3f1, v13
	v_or_b32_e32 v0, 0x1000, v6
	v_med3_i32 v14, v14, 0, 13
	v_lshrrev_b32_e32 v15, v14, v0
	v_mul_f16_sdwa v1, v1, v8 dst_sel:DWORD dst_unused:UNUSED_PAD src0_sel:DWORD src1_sel:WORD_1
	v_lshlrev_b32_e32 v14, v14, v15
	v_fma_f16 v1, v8, v12, -v1
	v_cmp_ne_u32_e32 vcc, v14, v0
	v_cvt_f32_f16_e32 v1, v1
	v_cndmask_b32_e64 v0, 0, 1, vcc
	v_add_u32_e32 v13, 0xfffffc10, v13
	v_or_b32_e32 v0, v15, v0
	v_lshl_or_b32 v14, v13, 12, v6
	v_cmp_gt_i32_e32 vcc, 1, v13
	v_cndmask_b32_e32 v0, v14, v0, vcc
	v_and_b32_e32 v14, 7, v0
	v_lshrrev_b32_e32 v8, 2, v0
	v_cvt_f64_f32_e32 v[0:1], v1
	v_cmp_lt_i32_e32 vcc, 5, v14
	v_cmp_eq_u32_e64 s[0:1], 3, v14
	s_or_b64 vcc, s[0:1], vcc
	v_mul_f64 v[0:1], v[0:1], s[14:15]
	v_addc_co_u32_e32 v8, vcc, 0, v8, vcc
	v_cmp_gt_i32_e32 vcc, 31, v13
	v_cndmask_b32_e32 v8, v4, v8, vcc
	v_cmp_ne_u32_e32 vcc, 0, v6
	v_cndmask_b32_e64 v6, 0, 1, vcc
	v_lshl_or_b32 v6, v6, 9, v4
	v_cmp_eq_u32_e32 vcc, s16, v13
	v_and_or_b32 v0, v1, s18, v0
	v_cndmask_b32_e32 v6, v8, v6, vcc
	v_lshrrev_b32_e32 v7, 16, v7
	v_cmp_ne_u32_e32 vcc, 0, v0
	v_and_or_b32 v8, v7, s10, v6
	v_cndmask_b32_e64 v0, 0, 1, vcc
	v_lshrrev_b32_e32 v6, 8, v1
	v_bfe_u32 v7, v1, 20, 11
	v_and_or_b32 v0, v6, s17, v0
	v_sub_u32_e32 v12, 0x3f1, v7
	v_or_b32_e32 v6, 0x1000, v0
	v_med3_i32 v12, v12, 0, 13
	v_lshrrev_b32_e32 v13, v12, v6
	v_lshlrev_b32_e32 v12, v12, v13
	v_cmp_ne_u32_e32 vcc, v12, v6
	v_cndmask_b32_e64 v6, 0, 1, vcc
	v_add_u32_e32 v12, 0xfffffc10, v7
	v_or_b32_e32 v6, v13, v6
	v_lshl_or_b32 v7, v12, 12, v0
	v_cmp_gt_i32_e32 vcc, 1, v12
	v_cndmask_b32_e32 v6, v7, v6, vcc
	v_and_b32_e32 v7, 7, v6
	v_cmp_lt_i32_e32 vcc, 5, v7
	v_cmp_eq_u32_e64 s[0:1], 3, v7
	v_lshrrev_b32_e32 v6, 2, v6
	s_or_b64 vcc, s[0:1], vcc
	v_addc_co_u32_e32 v13, vcc, 0, v6, vcc
	ds_read2_b32 v[6:7], v27 offset0:150 offset1:200
	v_cmp_gt_i32_e32 vcc, 31, v12
	v_cndmask_b32_e32 v13, v4, v13, vcc
	v_cmp_ne_u32_e32 vcc, 0, v0
	v_cndmask_b32_e64 v0, 0, 1, vcc
	s_waitcnt lgkmcnt(0)
	v_lshrrev_b32_e32 v14, 16, v6
	s_waitcnt vmcnt(5)
	v_mul_f16_sdwa v15, v14, v9 dst_sel:DWORD dst_unused:UNUSED_PAD src0_sel:DWORD src1_sel:WORD_1
	v_fma_f16 v15, v6, v9, v15
	v_cvt_f32_f16_e32 v15, v15
	v_lshl_or_b32 v0, v0, 9, v4
	v_cmp_eq_u32_e32 vcc, s16, v12
	v_cndmask_b32_e32 v0, v13, v0, vcc
	v_cvt_f64_f32_e32 v[12:13], v15
	v_lshrrev_b32_e32 v1, 16, v1
	v_and_or_b32 v15, v1, s10, v0
	v_add_co_u32_e32 v2, vcc, s3, v2
	v_mul_f64 v[0:1], v[12:13], s[14:15]
	v_mov_b32_e32 v12, s2
	v_and_b32_e32 v8, 0xffff, v8
	v_addc_co_u32_e32 v3, vcc, v3, v12, vcc
	v_lshl_or_b32 v8, v15, 16, v8
	global_store_dword v[2:3], v8, off
	v_mul_f16_sdwa v6, v6, v9 dst_sel:DWORD dst_unused:UNUSED_PAD src0_sel:DWORD src1_sel:WORD_1
	v_and_or_b32 v0, v1, s18, v0
	v_cmp_ne_u32_e32 vcc, 0, v0
	v_cndmask_b32_e64 v0, 0, 1, vcc
	v_lshrrev_b32_e32 v8, 8, v1
	v_bfe_u32 v12, v1, 20, 11
	v_and_or_b32 v0, v8, s17, v0
	v_sub_u32_e32 v13, 0x3f1, v12
	v_or_b32_e32 v8, 0x1000, v0
	v_med3_i32 v13, v13, 0, 13
	v_lshrrev_b32_e32 v15, v13, v8
	v_lshlrev_b32_e32 v13, v13, v15
	v_cmp_ne_u32_e32 vcc, v13, v8
	v_fma_f16 v6, v9, v14, -v6
	v_cndmask_b32_e64 v8, 0, 1, vcc
	v_add_u32_e32 v12, 0xfffffc10, v12
	v_cvt_f32_f16_e32 v6, v6
	v_or_b32_e32 v8, v15, v8
	v_lshl_or_b32 v13, v12, 12, v0
	v_cmp_gt_i32_e32 vcc, 1, v12
	v_cndmask_b32_e32 v8, v13, v8, vcc
	v_and_b32_e32 v13, 7, v8
	v_cmp_lt_i32_e32 vcc, 5, v13
	v_cmp_eq_u32_e64 s[0:1], 3, v13
	v_lshrrev_b32_e32 v13, 2, v8
	v_cvt_f64_f32_e32 v[8:9], v6
	s_or_b64 vcc, s[0:1], vcc
	v_addc_co_u32_e32 v6, vcc, 0, v13, vcc
	v_mul_f64 v[8:9], v[8:9], s[14:15]
	v_cmp_gt_i32_e32 vcc, 31, v12
	v_cndmask_b32_e32 v6, v4, v6, vcc
	v_cmp_ne_u32_e32 vcc, 0, v0
	v_cndmask_b32_e64 v0, 0, 1, vcc
	v_lshl_or_b32 v0, v0, 9, v4
	v_cmp_eq_u32_e32 vcc, s16, v12
	v_cndmask_b32_e32 v0, v6, v0, vcc
	v_lshrrev_b32_e32 v1, 16, v1
	v_and_or_b32 v6, v1, s10, v0
	v_and_or_b32 v0, v9, s18, v8
	v_cmp_ne_u32_e32 vcc, 0, v0
	v_cndmask_b32_e64 v0, 0, 1, vcc
	v_lshrrev_b32_e32 v1, 8, v9
	v_bfe_u32 v8, v9, 20, 11
	v_and_or_b32 v0, v1, s17, v0
	v_sub_u32_e32 v12, 0x3f1, v8
	v_or_b32_e32 v1, 0x1000, v0
	v_med3_i32 v12, v12, 0, 13
	v_lshrrev_b32_e32 v13, v12, v1
	v_lshlrev_b32_e32 v12, v12, v13
	v_cmp_ne_u32_e32 vcc, v12, v1
	v_cndmask_b32_e64 v1, 0, 1, vcc
	v_add_u32_e32 v8, 0xfffffc10, v8
	v_or_b32_e32 v1, v13, v1
	v_lshl_or_b32 v12, v8, 12, v0
	v_cmp_gt_i32_e32 vcc, 1, v8
	v_cndmask_b32_e32 v1, v12, v1, vcc
	v_and_b32_e32 v12, 7, v1
	v_cmp_lt_i32_e32 vcc, 5, v12
	v_cmp_eq_u32_e64 s[0:1], 3, v12
	v_lshrrev_b32_e32 v12, 16, v7
	v_lshrrev_b32_e32 v1, 2, v1
	s_or_b64 vcc, s[0:1], vcc
	s_waitcnt vmcnt(5)
	v_mul_f16_sdwa v13, v12, v10 dst_sel:DWORD dst_unused:UNUSED_PAD src0_sel:DWORD src1_sel:WORD_1
	v_addc_co_u32_e32 v1, vcc, 0, v1, vcc
	v_fma_f16 v13, v7, v10, v13
	v_cmp_gt_i32_e32 vcc, 31, v8
	v_cvt_f32_f16_e32 v13, v13
	v_cndmask_b32_e32 v1, v4, v1, vcc
	v_cmp_ne_u32_e32 vcc, 0, v0
	v_cndmask_b32_e64 v0, 0, 1, vcc
	v_lshl_or_b32 v0, v0, 9, v4
	v_cmp_eq_u32_e32 vcc, s16, v8
	v_cndmask_b32_e32 v8, v1, v0, vcc
	v_cvt_f64_f32_e32 v[0:1], v13
	v_lshrrev_b32_e32 v9, 16, v9
	v_and_or_b32 v8, v9, s10, v8
	v_and_b32_e32 v6, 0xffff, v6
	v_mul_f64 v[0:1], v[0:1], s[14:15]
	v_lshl_or_b32 v6, v8, 16, v6
	v_mov_b32_e32 v8, s2
	v_add_co_u32_e32 v2, vcc, s3, v2
	v_addc_co_u32_e32 v3, vcc, v3, v8, vcc
	global_store_dword v[2:3], v6, off
	v_and_or_b32 v0, v1, s18, v0
	v_cmp_ne_u32_e32 vcc, 0, v0
	v_cndmask_b32_e64 v0, 0, 1, vcc
	v_lshrrev_b32_e32 v6, 8, v1
	v_bfe_u32 v8, v1, 20, 11
	v_and_or_b32 v0, v6, s17, v0
	v_sub_u32_e32 v9, 0x3f1, v8
	v_or_b32_e32 v6, 0x1000, v0
	v_med3_i32 v9, v9, 0, 13
	v_lshrrev_b32_e32 v13, v9, v6
	v_lshlrev_b32_e32 v9, v9, v13
	v_mul_f16_sdwa v7, v7, v10 dst_sel:DWORD dst_unused:UNUSED_PAD src0_sel:DWORD src1_sel:WORD_1
	v_cmp_ne_u32_e32 vcc, v9, v6
	v_fma_f16 v7, v10, v12, -v7
	v_cndmask_b32_e64 v6, 0, 1, vcc
	v_add_u32_e32 v8, 0xfffffc10, v8
	v_cvt_f32_f16_e32 v7, v7
	v_or_b32_e32 v6, v13, v6
	v_lshl_or_b32 v9, v8, 12, v0
	v_cmp_gt_i32_e32 vcc, 1, v8
	v_cndmask_b32_e32 v6, v9, v6, vcc
	v_and_b32_e32 v9, 7, v6
	v_cmp_lt_i32_e32 vcc, 5, v9
	v_cmp_eq_u32_e64 s[0:1], 3, v9
	v_lshrrev_b32_e32 v9, 2, v6
	v_cvt_f64_f32_e32 v[6:7], v7
	s_or_b64 vcc, s[0:1], vcc
	v_addc_co_u32_e32 v9, vcc, 0, v9, vcc
	v_mul_f64 v[6:7], v[6:7], s[14:15]
	v_cmp_gt_i32_e32 vcc, 31, v8
	v_cndmask_b32_e32 v9, v4, v9, vcc
	v_cmp_ne_u32_e32 vcc, 0, v0
	v_cndmask_b32_e64 v0, 0, 1, vcc
	v_lshl_or_b32 v0, v0, 9, v4
	v_cmp_eq_u32_e32 vcc, s16, v8
	v_cndmask_b32_e32 v0, v9, v0, vcc
	v_lshrrev_b32_e32 v1, 16, v1
	v_and_or_b32 v10, v1, s10, v0
	v_and_or_b32 v0, v7, s18, v6
	v_cmp_ne_u32_e32 vcc, 0, v0
	v_cndmask_b32_e64 v0, 0, 1, vcc
	v_lshrrev_b32_e32 v1, 8, v7
	v_and_or_b32 v6, v1, s17, v0
	v_bfe_u32 v1, v7, 20, 11
	v_sub_u32_e32 v8, 0x3f1, v1
	v_or_b32_e32 v0, 0x1000, v6
	v_med3_i32 v8, v8, 0, 13
	v_lshrrev_b32_e32 v9, v8, v0
	v_lshlrev_b32_e32 v8, v8, v9
	v_cmp_ne_u32_e32 vcc, v8, v0
	v_cndmask_b32_e64 v0, 0, 1, vcc
	v_add_u32_e32 v8, 0xfffffc10, v1
	v_or_b32_e32 v0, v9, v0
	v_lshl_or_b32 v1, v8, 12, v6
	v_cmp_gt_i32_e32 vcc, 1, v8
	v_cndmask_b32_e32 v0, v1, v0, vcc
	v_and_b32_e32 v1, 7, v0
	v_cmp_lt_i32_e32 vcc, 5, v1
	v_cmp_eq_u32_e64 s[0:1], 3, v1
	v_lshrrev_b32_e32 v0, 2, v0
	s_or_b64 vcc, s[0:1], vcc
	v_addc_co_u32_e32 v9, vcc, 0, v0, vcc
	ds_read2_b32 v[0:1], v18 offset0:122 offset1:172
	v_cmp_gt_i32_e32 vcc, 31, v8
	v_cndmask_b32_e32 v9, v4, v9, vcc
	v_cmp_ne_u32_e32 vcc, 0, v6
	v_cndmask_b32_e64 v6, 0, 1, vcc
	s_waitcnt lgkmcnt(0)
	v_lshrrev_b32_e32 v12, 16, v0
	s_waitcnt vmcnt(5)
	v_mul_f16_sdwa v13, v12, v11 dst_sel:DWORD dst_unused:UNUSED_PAD src0_sel:DWORD src1_sel:WORD_1
	v_fma_f16 v13, v0, v11, v13
	v_cvt_f32_f16_e32 v13, v13
	v_lshl_or_b32 v6, v6, 9, v4
	v_cmp_eq_u32_e32 vcc, s16, v8
	v_cndmask_b32_e32 v6, v9, v6, vcc
	v_cvt_f64_f32_e32 v[8:9], v13
	v_lshrrev_b32_e32 v7, 16, v7
	v_and_or_b32 v13, v7, s10, v6
	v_add_co_u32_e32 v2, vcc, s3, v2
	v_mul_f64 v[6:7], v[8:9], s[14:15]
	v_mov_b32_e32 v9, s2
	v_and_b32_e32 v10, 0xffff, v10
	v_addc_co_u32_e32 v3, vcc, v3, v9, vcc
	v_lshl_or_b32 v8, v13, 16, v10
	global_store_dword v[2:3], v8, off
	v_mul_f16_sdwa v0, v0, v11 dst_sel:DWORD dst_unused:UNUSED_PAD src0_sel:DWORD src1_sel:WORD_1
	v_and_or_b32 v6, v7, s18, v6
	v_cmp_ne_u32_e32 vcc, 0, v6
	v_cndmask_b32_e64 v6, 0, 1, vcc
	v_lshrrev_b32_e32 v8, 8, v7
	v_bfe_u32 v9, v7, 20, 11
	v_and_or_b32 v6, v8, s17, v6
	v_sub_u32_e32 v10, 0x3f1, v9
	v_or_b32_e32 v8, 0x1000, v6
	v_med3_i32 v10, v10, 0, 13
	v_lshrrev_b32_e32 v13, v10, v8
	v_lshlrev_b32_e32 v10, v10, v13
	v_cmp_ne_u32_e32 vcc, v10, v8
	v_fma_f16 v0, v11, v12, -v0
	v_cndmask_b32_e64 v8, 0, 1, vcc
	v_add_u32_e32 v10, 0xfffffc10, v9
	v_cvt_f32_f16_e32 v0, v0
	v_or_b32_e32 v8, v13, v8
	v_lshl_or_b32 v9, v10, 12, v6
	v_cmp_gt_i32_e32 vcc, 1, v10
	v_cndmask_b32_e32 v8, v9, v8, vcc
	v_and_b32_e32 v9, 7, v8
	v_cmp_lt_i32_e32 vcc, 5, v9
	v_cmp_eq_u32_e64 s[0:1], 3, v9
	v_lshrrev_b32_e32 v11, 2, v8
	v_cvt_f64_f32_e32 v[8:9], v0
	s_or_b64 vcc, s[0:1], vcc
	v_addc_co_u32_e32 v0, vcc, 0, v11, vcc
	v_mul_f64 v[8:9], v[8:9], s[14:15]
	v_cmp_gt_i32_e32 vcc, 31, v10
	v_cndmask_b32_e32 v0, v4, v0, vcc
	v_cmp_ne_u32_e32 vcc, 0, v6
	v_cndmask_b32_e64 v6, 0, 1, vcc
	v_lshl_or_b32 v6, v6, 9, v4
	v_cmp_eq_u32_e32 vcc, s16, v10
	v_cndmask_b32_e32 v0, v0, v6, vcc
	v_lshrrev_b32_e32 v6, 16, v7
	v_and_or_b32 v0, v6, s10, v0
	v_and_or_b32 v6, v9, s18, v8
	v_cmp_ne_u32_e32 vcc, 0, v6
	v_cndmask_b32_e64 v6, 0, 1, vcc
	v_lshrrev_b32_e32 v7, 8, v9
	v_bfe_u32 v8, v9, 20, 11
	v_and_or_b32 v6, v7, s17, v6
	v_sub_u32_e32 v10, 0x3f1, v8
	v_or_b32_e32 v7, 0x1000, v6
	v_med3_i32 v10, v10, 0, 13
	v_lshrrev_b32_e32 v11, v10, v7
	v_lshlrev_b32_e32 v10, v10, v11
	v_cmp_ne_u32_e32 vcc, v10, v7
	v_cndmask_b32_e64 v7, 0, 1, vcc
	v_add_u32_e32 v8, 0xfffffc10, v8
	v_or_b32_e32 v7, v11, v7
	v_lshl_or_b32 v10, v8, 12, v6
	v_cmp_gt_i32_e32 vcc, 1, v8
	v_cndmask_b32_e32 v7, v10, v7, vcc
	v_and_b32_e32 v10, 7, v7
	v_cmp_lt_i32_e32 vcc, 5, v10
	v_cmp_eq_u32_e64 s[0:1], 3, v10
	v_lshrrev_b32_e32 v7, 2, v7
	s_or_b64 vcc, s[0:1], vcc
	v_addc_co_u32_e32 v7, vcc, 0, v7, vcc
	v_cmp_gt_i32_e32 vcc, 31, v8
	v_cndmask_b32_e32 v7, v4, v7, vcc
	v_cmp_ne_u32_e32 vcc, 0, v6
	v_cndmask_b32_e64 v6, 0, 1, vcc
	v_lshl_or_b32 v6, v6, 9, v4
	v_cmp_eq_u32_e32 vcc, s16, v8
	v_cndmask_b32_e32 v8, v7, v6, vcc
	v_lshrrev_b32_e32 v9, 16, v9
	v_and_or_b32 v8, v9, s10, v8
	global_load_dword v9, v27, s[6:7] offset:1400
	v_lshrrev_b32_e32 v10, 16, v1
	s_waitcnt vmcnt(6)
	v_mul_f16_sdwa v11, v10, v5 dst_sel:DWORD dst_unused:UNUSED_PAD src0_sel:DWORD src1_sel:WORD_1
	v_fma_f16 v11, v1, v5, v11
	v_cvt_f32_f16_e32 v11, v11
	v_and_b32_e32 v0, 0xffff, v0
	v_lshl_or_b32 v0, v8, 16, v0
	v_mov_b32_e32 v8, s2
	v_cvt_f64_f32_e32 v[6:7], v11
	v_add_co_u32_e32 v2, vcc, s3, v2
	v_addc_co_u32_e32 v3, vcc, v3, v8, vcc
	v_mul_f64 v[6:7], v[6:7], s[14:15]
	global_store_dword v[2:3], v0, off
	v_mul_f16_sdwa v1, v1, v5 dst_sel:DWORD dst_unused:UNUSED_PAD src0_sel:DWORD src1_sel:WORD_1
	v_fma_f16 v1, v5, v10, -v1
	v_cvt_f32_f16_e32 v1, v1
	v_and_or_b32 v0, v7, s18, v6
	v_cmp_ne_u32_e32 vcc, 0, v0
	v_cndmask_b32_e64 v0, 0, 1, vcc
	v_lshrrev_b32_e32 v6, 8, v7
	v_bfe_u32 v8, v7, 20, 11
	v_and_or_b32 v6, v6, s17, v0
	v_sub_u32_e32 v11, 0x3f1, v8
	v_or_b32_e32 v0, 0x1000, v6
	v_med3_i32 v11, v11, 0, 13
	v_lshrrev_b32_e32 v12, v11, v0
	v_lshlrev_b32_e32 v11, v11, v12
	v_cmp_ne_u32_e32 vcc, v11, v0
	v_cndmask_b32_e64 v0, 0, 1, vcc
	v_add_u32_e32 v8, 0xfffffc10, v8
	v_or_b32_e32 v0, v12, v0
	v_lshl_or_b32 v11, v8, 12, v6
	v_cmp_gt_i32_e32 vcc, 1, v8
	v_cndmask_b32_e32 v0, v11, v0, vcc
	v_and_b32_e32 v11, 7, v0
	v_lshrrev_b32_e32 v5, 2, v0
	v_cvt_f64_f32_e32 v[0:1], v1
	v_cmp_lt_i32_e32 vcc, 5, v11
	v_cmp_eq_u32_e64 s[0:1], 3, v11
	s_or_b64 vcc, s[0:1], vcc
	v_mul_f64 v[0:1], v[0:1], s[14:15]
	v_addc_co_u32_e32 v5, vcc, 0, v5, vcc
	v_cmp_gt_i32_e32 vcc, 31, v8
	v_cndmask_b32_e32 v5, v4, v5, vcc
	v_cmp_ne_u32_e32 vcc, 0, v6
	v_cndmask_b32_e64 v6, 0, 1, vcc
	v_lshl_or_b32 v6, v6, 9, v4
	v_cmp_eq_u32_e32 vcc, s16, v8
	v_and_or_b32 v0, v1, s18, v0
	v_cndmask_b32_e32 v5, v5, v6, vcc
	v_lshrrev_b32_e32 v6, 16, v7
	v_cmp_ne_u32_e32 vcc, 0, v0
	v_and_or_b32 v10, v6, s10, v5
	v_cndmask_b32_e64 v0, 0, 1, vcc
	v_lshrrev_b32_e32 v5, 8, v1
	v_bfe_u32 v6, v1, 20, 11
	v_and_or_b32 v0, v5, s17, v0
	v_sub_u32_e32 v7, 0x3f1, v6
	v_or_b32_e32 v5, 0x1000, v0
	v_med3_i32 v7, v7, 0, 13
	v_lshrrev_b32_e32 v8, v7, v5
	v_lshlrev_b32_e32 v7, v7, v8
	v_cmp_ne_u32_e32 vcc, v7, v5
	v_cndmask_b32_e64 v5, 0, 1, vcc
	v_add_u32_e32 v7, 0xfffffc10, v6
	v_or_b32_e32 v5, v8, v5
	v_lshl_or_b32 v6, v7, 12, v0
	v_cmp_gt_i32_e32 vcc, 1, v7
	v_cndmask_b32_e32 v5, v6, v5, vcc
	v_and_b32_e32 v6, 7, v5
	v_cmp_lt_i32_e32 vcc, 5, v6
	v_cmp_eq_u32_e64 s[0:1], 3, v6
	v_lshrrev_b32_e32 v5, 2, v5
	s_or_b64 vcc, s[0:1], vcc
	v_addc_co_u32_e32 v8, vcc, 0, v5, vcc
	ds_read2_b32 v[5:6], v17 offset0:94 offset1:144
	global_load_dword v12, v27, s[6:7] offset:1600
	global_load_dword v13, v27, s[6:7] offset:1800
	;; [unrolled: 1-line block ×3, first 2 shown]
	v_cmp_gt_i32_e32 vcc, 31, v7
	v_cndmask_b32_e32 v8, v4, v8, vcc
	v_cmp_ne_u32_e32 vcc, 0, v0
	s_waitcnt lgkmcnt(0)
	v_lshrrev_b32_e32 v11, 16, v5
	s_waitcnt vmcnt(4)
	v_mul_f16_sdwa v15, v11, v9 dst_sel:DWORD dst_unused:UNUSED_PAD src0_sel:DWORD src1_sel:WORD_1
	v_fma_f16 v15, v5, v9, v15
	v_cvt_f32_f16_e32 v15, v15
	v_cndmask_b32_e64 v0, 0, 1, vcc
	v_lshl_or_b32 v0, v0, 9, v4
	v_cmp_eq_u32_e32 vcc, s16, v7
	v_cndmask_b32_e32 v0, v8, v0, vcc
	v_cvt_f64_f32_e32 v[7:8], v15
	v_lshrrev_b32_e32 v1, 16, v1
	v_and_or_b32 v15, v1, s10, v0
	v_add_co_u32_e32 v2, vcc, s3, v2
	v_mul_f64 v[0:1], v[7:8], s[14:15]
	v_mov_b32_e32 v8, s2
	v_and_b32_e32 v10, 0xffff, v10
	v_addc_co_u32_e32 v3, vcc, v3, v8, vcc
	v_lshl_or_b32 v7, v15, 16, v10
	global_store_dword v[2:3], v7, off
	v_mul_f16_sdwa v5, v5, v9 dst_sel:DWORD dst_unused:UNUSED_PAD src0_sel:DWORD src1_sel:WORD_1
	v_and_or_b32 v0, v1, s18, v0
	v_cmp_ne_u32_e32 vcc, 0, v0
	v_cndmask_b32_e64 v0, 0, 1, vcc
	v_lshrrev_b32_e32 v7, 8, v1
	v_bfe_u32 v8, v1, 20, 11
	v_and_or_b32 v0, v7, s17, v0
	v_sub_u32_e32 v10, 0x3f1, v8
	v_or_b32_e32 v7, 0x1000, v0
	v_med3_i32 v10, v10, 0, 13
	v_lshrrev_b32_e32 v15, v10, v7
	v_lshlrev_b32_e32 v10, v10, v15
	v_cmp_ne_u32_e32 vcc, v10, v7
	v_fma_f16 v5, v9, v11, -v5
	v_cndmask_b32_e64 v7, 0, 1, vcc
	v_add_u32_e32 v10, 0xfffffc10, v8
	v_cvt_f32_f16_e32 v5, v5
	v_or_b32_e32 v7, v15, v7
	v_lshl_or_b32 v8, v10, 12, v0
	v_cmp_gt_i32_e32 vcc, 1, v10
	v_cndmask_b32_e32 v7, v8, v7, vcc
	v_and_b32_e32 v8, 7, v7
	v_cmp_lt_i32_e32 vcc, 5, v8
	v_cmp_eq_u32_e64 s[0:1], 3, v8
	v_lshrrev_b32_e32 v9, 2, v7
	v_cvt_f64_f32_e32 v[7:8], v5
	s_or_b64 vcc, s[0:1], vcc
	v_addc_co_u32_e32 v5, vcc, 0, v9, vcc
	v_mul_f64 v[7:8], v[7:8], s[14:15]
	v_cmp_gt_i32_e32 vcc, 31, v10
	v_cndmask_b32_e32 v5, v4, v5, vcc
	v_cmp_ne_u32_e32 vcc, 0, v0
	v_cndmask_b32_e64 v0, 0, 1, vcc
	v_lshl_or_b32 v0, v0, 9, v4
	v_cmp_eq_u32_e32 vcc, s16, v10
	v_cndmask_b32_e32 v0, v5, v0, vcc
	v_lshrrev_b32_e32 v1, 16, v1
	v_and_or_b32 v5, v1, s10, v0
	v_and_or_b32 v0, v8, s18, v7
	v_cmp_ne_u32_e32 vcc, 0, v0
	v_cndmask_b32_e64 v0, 0, 1, vcc
	v_lshrrev_b32_e32 v1, 8, v8
	v_bfe_u32 v7, v8, 20, 11
	v_and_or_b32 v0, v1, s17, v0
	v_sub_u32_e32 v9, 0x3f1, v7
	v_or_b32_e32 v1, 0x1000, v0
	v_med3_i32 v9, v9, 0, 13
	v_lshrrev_b32_e32 v10, v9, v1
	v_lshlrev_b32_e32 v9, v9, v10
	v_cmp_ne_u32_e32 vcc, v9, v1
	v_cndmask_b32_e64 v1, 0, 1, vcc
	v_add_u32_e32 v7, 0xfffffc10, v7
	v_or_b32_e32 v1, v10, v1
	v_lshl_or_b32 v9, v7, 12, v0
	v_cmp_gt_i32_e32 vcc, 1, v7
	v_cndmask_b32_e32 v1, v9, v1, vcc
	v_and_b32_e32 v9, 7, v1
	v_cmp_lt_i32_e32 vcc, 5, v9
	v_cmp_eq_u32_e64 s[0:1], 3, v9
	v_lshrrev_b32_e32 v9, 16, v6
	v_lshrrev_b32_e32 v1, 2, v1
	s_or_b64 vcc, s[0:1], vcc
	s_waitcnt vmcnt(3)
	v_mul_f16_sdwa v10, v9, v12 dst_sel:DWORD dst_unused:UNUSED_PAD src0_sel:DWORD src1_sel:WORD_1
	v_addc_co_u32_e32 v1, vcc, 0, v1, vcc
	v_fma_f16 v10, v6, v12, v10
	v_cmp_gt_i32_e32 vcc, 31, v7
	v_cvt_f32_f16_e32 v10, v10
	v_cndmask_b32_e32 v1, v4, v1, vcc
	v_cmp_ne_u32_e32 vcc, 0, v0
	v_cndmask_b32_e64 v0, 0, 1, vcc
	v_lshl_or_b32 v0, v0, 9, v4
	v_cmp_eq_u32_e32 vcc, s16, v7
	v_cndmask_b32_e32 v7, v1, v0, vcc
	v_cvt_f64_f32_e32 v[0:1], v10
	v_lshrrev_b32_e32 v8, 16, v8
	v_and_or_b32 v7, v8, s10, v7
	v_and_b32_e32 v5, 0xffff, v5
	v_mul_f64 v[0:1], v[0:1], s[14:15]
	v_lshl_or_b32 v5, v7, 16, v5
	v_mov_b32_e32 v7, s2
	v_add_co_u32_e32 v2, vcc, s3, v2
	v_addc_co_u32_e32 v3, vcc, v3, v7, vcc
	global_store_dword v[2:3], v5, off
	v_and_or_b32 v0, v1, s18, v0
	v_cmp_ne_u32_e32 vcc, 0, v0
	v_cndmask_b32_e64 v0, 0, 1, vcc
	v_lshrrev_b32_e32 v5, 8, v1
	v_bfe_u32 v7, v1, 20, 11
	v_and_or_b32 v0, v5, s17, v0
	v_sub_u32_e32 v8, 0x3f1, v7
	v_or_b32_e32 v5, 0x1000, v0
	v_med3_i32 v8, v8, 0, 13
	v_lshrrev_b32_e32 v10, v8, v5
	v_lshlrev_b32_e32 v8, v8, v10
	v_mul_f16_sdwa v6, v6, v12 dst_sel:DWORD dst_unused:UNUSED_PAD src0_sel:DWORD src1_sel:WORD_1
	v_cmp_ne_u32_e32 vcc, v8, v5
	v_fma_f16 v6, v12, v9, -v6
	v_cndmask_b32_e64 v5, 0, 1, vcc
	v_add_u32_e32 v7, 0xfffffc10, v7
	v_cvt_f32_f16_e32 v6, v6
	v_or_b32_e32 v5, v10, v5
	v_lshl_or_b32 v8, v7, 12, v0
	v_cmp_gt_i32_e32 vcc, 1, v7
	v_cndmask_b32_e32 v5, v8, v5, vcc
	v_and_b32_e32 v8, 7, v5
	v_cmp_lt_i32_e32 vcc, 5, v8
	v_cmp_eq_u32_e64 s[0:1], 3, v8
	v_lshrrev_b32_e32 v8, 2, v5
	v_cvt_f64_f32_e32 v[5:6], v6
	s_or_b64 vcc, s[0:1], vcc
	v_addc_co_u32_e32 v8, vcc, 0, v8, vcc
	v_mul_f64 v[5:6], v[5:6], s[14:15]
	v_cmp_gt_i32_e32 vcc, 31, v7
	v_cndmask_b32_e32 v8, v4, v8, vcc
	v_cmp_ne_u32_e32 vcc, 0, v0
	v_cndmask_b32_e64 v0, 0, 1, vcc
	v_lshl_or_b32 v0, v0, 9, v4
	v_cmp_eq_u32_e32 vcc, s16, v7
	v_cndmask_b32_e32 v0, v8, v0, vcc
	v_lshrrev_b32_e32 v1, 16, v1
	v_and_or_b32 v9, v1, s10, v0
	v_and_or_b32 v0, v6, s18, v5
	v_cmp_ne_u32_e32 vcc, 0, v0
	v_cndmask_b32_e64 v0, 0, 1, vcc
	v_lshrrev_b32_e32 v1, 8, v6
	v_and_or_b32 v5, v1, s17, v0
	v_bfe_u32 v1, v6, 20, 11
	v_sub_u32_e32 v7, 0x3f1, v1
	v_or_b32_e32 v0, 0x1000, v5
	v_med3_i32 v7, v7, 0, 13
	v_lshrrev_b32_e32 v8, v7, v0
	v_lshlrev_b32_e32 v7, v7, v8
	v_cmp_ne_u32_e32 vcc, v7, v0
	v_cndmask_b32_e64 v0, 0, 1, vcc
	v_add_u32_e32 v7, 0xfffffc10, v1
	v_or_b32_e32 v0, v8, v0
	v_lshl_or_b32 v1, v7, 12, v5
	v_cmp_gt_i32_e32 vcc, 1, v7
	v_cndmask_b32_e32 v0, v1, v0, vcc
	v_and_b32_e32 v1, 7, v0
	v_cmp_lt_i32_e32 vcc, 5, v1
	v_cmp_eq_u32_e64 s[0:1], 3, v1
	v_lshrrev_b32_e32 v0, 2, v0
	s_or_b64 vcc, s[0:1], vcc
	v_addc_co_u32_e32 v8, vcc, 0, v0, vcc
	ds_read2_b32 v[0:1], v17 offset0:194 offset1:244
	v_cmp_gt_i32_e32 vcc, 31, v7
	v_cndmask_b32_e32 v8, v4, v8, vcc
	v_cmp_ne_u32_e32 vcc, 0, v5
	v_cndmask_b32_e64 v5, 0, 1, vcc
	s_waitcnt lgkmcnt(0)
	v_lshrrev_b32_e32 v10, 16, v0
	s_waitcnt vmcnt(3)
	v_mul_f16_sdwa v11, v10, v13 dst_sel:DWORD dst_unused:UNUSED_PAD src0_sel:DWORD src1_sel:WORD_1
	v_fma_f16 v11, v0, v13, v11
	v_cvt_f32_f16_e32 v11, v11
	v_lshl_or_b32 v5, v5, 9, v4
	v_cmp_eq_u32_e32 vcc, s16, v7
	v_cndmask_b32_e32 v5, v8, v5, vcc
	v_cvt_f64_f32_e32 v[7:8], v11
	v_lshrrev_b32_e32 v6, 16, v6
	v_and_or_b32 v11, v6, s10, v5
	v_add_co_u32_e32 v2, vcc, s3, v2
	v_mul_f64 v[5:6], v[7:8], s[14:15]
	v_mov_b32_e32 v8, s2
	v_and_b32_e32 v9, 0xffff, v9
	v_addc_co_u32_e32 v3, vcc, v3, v8, vcc
	v_lshl_or_b32 v7, v11, 16, v9
	global_store_dword v[2:3], v7, off
	v_mul_f16_sdwa v0, v0, v13 dst_sel:DWORD dst_unused:UNUSED_PAD src0_sel:DWORD src1_sel:WORD_1
	v_and_or_b32 v5, v6, s18, v5
	v_cmp_ne_u32_e32 vcc, 0, v5
	v_cndmask_b32_e64 v5, 0, 1, vcc
	v_lshrrev_b32_e32 v7, 8, v6
	v_bfe_u32 v8, v6, 20, 11
	v_and_or_b32 v5, v7, s17, v5
	v_sub_u32_e32 v9, 0x3f1, v8
	v_or_b32_e32 v7, 0x1000, v5
	v_med3_i32 v9, v9, 0, 13
	v_lshrrev_b32_e32 v11, v9, v7
	v_lshlrev_b32_e32 v9, v9, v11
	v_cmp_ne_u32_e32 vcc, v9, v7
	v_fma_f16 v0, v13, v10, -v0
	v_cndmask_b32_e64 v7, 0, 1, vcc
	v_add_u32_e32 v9, 0xfffffc10, v8
	v_cvt_f32_f16_e32 v0, v0
	v_or_b32_e32 v7, v11, v7
	v_lshl_or_b32 v8, v9, 12, v5
	v_cmp_gt_i32_e32 vcc, 1, v9
	v_cndmask_b32_e32 v7, v8, v7, vcc
	v_and_b32_e32 v8, 7, v7
	v_cmp_lt_i32_e32 vcc, 5, v8
	v_cmp_eq_u32_e64 s[0:1], 3, v8
	v_lshrrev_b32_e32 v10, 2, v7
	v_cvt_f64_f32_e32 v[7:8], v0
	s_or_b64 vcc, s[0:1], vcc
	v_addc_co_u32_e32 v0, vcc, 0, v10, vcc
	v_mul_f64 v[7:8], v[7:8], s[14:15]
	v_cmp_gt_i32_e32 vcc, 31, v9
	v_cndmask_b32_e32 v0, v4, v0, vcc
	v_cmp_ne_u32_e32 vcc, 0, v5
	v_cndmask_b32_e64 v5, 0, 1, vcc
	v_lshl_or_b32 v5, v5, 9, v4
	v_cmp_eq_u32_e32 vcc, s16, v9
	v_cndmask_b32_e32 v0, v0, v5, vcc
	v_lshrrev_b32_e32 v5, 16, v6
	v_and_or_b32 v0, v5, s10, v0
	v_and_or_b32 v5, v8, s18, v7
	v_cmp_ne_u32_e32 vcc, 0, v5
	v_cndmask_b32_e64 v5, 0, 1, vcc
	v_lshrrev_b32_e32 v6, 8, v8
	v_bfe_u32 v7, v8, 20, 11
	v_and_or_b32 v5, v6, s17, v5
	v_sub_u32_e32 v9, 0x3f1, v7
	v_or_b32_e32 v6, 0x1000, v5
	v_med3_i32 v9, v9, 0, 13
	v_lshrrev_b32_e32 v10, v9, v6
	v_lshlrev_b32_e32 v9, v9, v10
	v_cmp_ne_u32_e32 vcc, v9, v6
	v_cndmask_b32_e64 v6, 0, 1, vcc
	v_add_u32_e32 v7, 0xfffffc10, v7
	v_or_b32_e32 v6, v10, v6
	v_lshl_or_b32 v9, v7, 12, v5
	v_cmp_gt_i32_e32 vcc, 1, v7
	v_cndmask_b32_e32 v6, v9, v6, vcc
	v_and_b32_e32 v9, 7, v6
	v_cmp_lt_i32_e32 vcc, 5, v9
	v_cmp_eq_u32_e64 s[0:1], 3, v9
	v_lshrrev_b32_e32 v9, 16, v1
	v_lshrrev_b32_e32 v6, 2, v6
	s_or_b64 vcc, s[0:1], vcc
	s_waitcnt vmcnt(3)
	v_mul_f16_sdwa v10, v9, v14 dst_sel:DWORD dst_unused:UNUSED_PAD src0_sel:DWORD src1_sel:WORD_1
	v_addc_co_u32_e32 v6, vcc, 0, v6, vcc
	v_fma_f16 v10, v1, v14, v10
	v_cmp_gt_i32_e32 vcc, 31, v7
	v_cvt_f32_f16_e32 v10, v10
	v_cndmask_b32_e32 v6, v4, v6, vcc
	v_cmp_ne_u32_e32 vcc, 0, v5
	v_cndmask_b32_e64 v5, 0, 1, vcc
	v_lshl_or_b32 v5, v5, 9, v4
	v_cmp_eq_u32_e32 vcc, s16, v7
	v_cndmask_b32_e32 v7, v6, v5, vcc
	v_cvt_f64_f32_e32 v[5:6], v10
	v_lshrrev_b32_e32 v8, 16, v8
	v_and_or_b32 v7, v8, s10, v7
	v_and_b32_e32 v0, 0xffff, v0
	v_mul_f64 v[5:6], v[5:6], s[14:15]
	v_lshl_or_b32 v0, v7, 16, v0
	v_mov_b32_e32 v7, s2
	v_add_co_u32_e32 v2, vcc, s3, v2
	v_addc_co_u32_e32 v3, vcc, v3, v7, vcc
	global_store_dword v[2:3], v0, off
	v_and_or_b32 v0, v6, s18, v5
	v_cmp_ne_u32_e32 vcc, 0, v0
	v_cndmask_b32_e64 v0, 0, 1, vcc
	v_lshrrev_b32_e32 v5, 8, v6
	v_bfe_u32 v7, v6, 20, 11
	v_and_or_b32 v5, v5, s17, v0
	v_sub_u32_e32 v8, 0x3f1, v7
	v_or_b32_e32 v0, 0x1000, v5
	v_med3_i32 v8, v8, 0, 13
	v_lshrrev_b32_e32 v10, v8, v0
	v_lshlrev_b32_e32 v8, v8, v10
	v_mul_f16_sdwa v1, v1, v14 dst_sel:DWORD dst_unused:UNUSED_PAD src0_sel:DWORD src1_sel:WORD_1
	v_cmp_ne_u32_e32 vcc, v8, v0
	v_fma_f16 v1, v14, v9, -v1
	v_cndmask_b32_e64 v0, 0, 1, vcc
	v_add_u32_e32 v7, 0xfffffc10, v7
	v_cvt_f32_f16_e32 v1, v1
	v_or_b32_e32 v0, v10, v0
	v_lshl_or_b32 v8, v7, 12, v5
	v_cmp_gt_i32_e32 vcc, 1, v7
	v_cndmask_b32_e32 v0, v8, v0, vcc
	v_and_b32_e32 v8, 7, v0
	v_cmp_lt_i32_e32 vcc, 5, v8
	v_cmp_eq_u32_e64 s[0:1], 3, v8
	v_lshrrev_b32_e32 v8, 2, v0
	v_cvt_f64_f32_e32 v[0:1], v1
	s_or_b64 vcc, s[0:1], vcc
	v_addc_co_u32_e32 v8, vcc, 0, v8, vcc
	v_mul_f64 v[0:1], v[0:1], s[14:15]
	v_cmp_gt_i32_e32 vcc, 31, v7
	v_cndmask_b32_e32 v8, v4, v8, vcc
	v_cmp_ne_u32_e32 vcc, 0, v5
	v_cndmask_b32_e64 v5, 0, 1, vcc
	v_lshl_or_b32 v5, v5, 9, v4
	v_cmp_eq_u32_e32 vcc, s16, v7
	v_cndmask_b32_e32 v5, v8, v5, vcc
	v_and_or_b32 v0, v1, s18, v0
	v_lshrrev_b32_e32 v6, 16, v6
	v_cmp_ne_u32_e32 vcc, 0, v0
	v_and_or_b32 v5, v6, s10, v5
	v_cndmask_b32_e64 v0, 0, 1, vcc
	v_lshrrev_b32_e32 v6, 8, v1
	v_bfe_u32 v7, v1, 20, 11
	v_and_or_b32 v0, v6, s17, v0
	v_sub_u32_e32 v8, 0x3f1, v7
	v_or_b32_e32 v6, 0x1000, v0
	v_med3_i32 v8, v8, 0, 13
	v_lshrrev_b32_e32 v9, v8, v6
	v_lshlrev_b32_e32 v8, v8, v9
	v_cmp_ne_u32_e32 vcc, v8, v6
	v_cndmask_b32_e64 v6, 0, 1, vcc
	v_add_u32_e32 v7, 0xfffffc10, v7
	v_or_b32_e32 v6, v9, v6
	v_lshl_or_b32 v8, v7, 12, v0
	v_cmp_gt_i32_e32 vcc, 1, v7
	v_cndmask_b32_e32 v6, v8, v6, vcc
	v_and_b32_e32 v8, 7, v6
	v_cmp_lt_i32_e32 vcc, 5, v8
	v_cmp_eq_u32_e64 s[0:1], 3, v8
	v_lshrrev_b32_e32 v6, 2, v6
	s_or_b64 vcc, s[0:1], vcc
	v_addc_co_u32_e32 v6, vcc, 0, v6, vcc
	v_cmp_gt_i32_e32 vcc, 31, v7
	v_cndmask_b32_e32 v6, v4, v6, vcc
	v_cmp_ne_u32_e32 vcc, 0, v0
	v_cndmask_b32_e64 v0, 0, 1, vcc
	v_lshl_or_b32 v0, v0, 9, v4
	v_cmp_eq_u32_e32 vcc, s16, v7
	v_cndmask_b32_e32 v0, v6, v0, vcc
	v_lshrrev_b32_e32 v1, 16, v1
	v_and_or_b32 v0, v1, s10, v0
	v_and_b32_e32 v1, 0xffff, v5
	v_lshl_or_b32 v4, v0, 16, v1
	v_mov_b32_e32 v1, s2
	v_add_co_u32_e32 v0, vcc, s3, v2
	v_addc_co_u32_e32 v1, vcc, v3, v1, vcc
	global_store_dword v[0:1], v4, off
.LBB0_15:
	s_endpgm
	.section	.rodata,"a",@progbits
	.p2align	6, 0x0
	.amdhsa_kernel bluestein_single_fwd_len550_dim1_half_op_CI_CI
		.amdhsa_group_segment_fixed_size 2200
		.amdhsa_private_segment_fixed_size 0
		.amdhsa_kernarg_size 104
		.amdhsa_user_sgpr_count 6
		.amdhsa_user_sgpr_private_segment_buffer 1
		.amdhsa_user_sgpr_dispatch_ptr 0
		.amdhsa_user_sgpr_queue_ptr 0
		.amdhsa_user_sgpr_kernarg_segment_ptr 1
		.amdhsa_user_sgpr_dispatch_id 0
		.amdhsa_user_sgpr_flat_scratch_init 0
		.amdhsa_user_sgpr_private_segment_size 0
		.amdhsa_uses_dynamic_stack 0
		.amdhsa_system_sgpr_private_segment_wavefront_offset 0
		.amdhsa_system_sgpr_workgroup_id_x 1
		.amdhsa_system_sgpr_workgroup_id_y 0
		.amdhsa_system_sgpr_workgroup_id_z 0
		.amdhsa_system_sgpr_workgroup_info 0
		.amdhsa_system_vgpr_workitem_id 0
		.amdhsa_next_free_vgpr 107
		.amdhsa_next_free_sgpr 25
		.amdhsa_reserve_vcc 1
		.amdhsa_reserve_flat_scratch 0
		.amdhsa_float_round_mode_32 0
		.amdhsa_float_round_mode_16_64 0
		.amdhsa_float_denorm_mode_32 3
		.amdhsa_float_denorm_mode_16_64 3
		.amdhsa_dx10_clamp 1
		.amdhsa_ieee_mode 1
		.amdhsa_fp16_overflow 0
		.amdhsa_exception_fp_ieee_invalid_op 0
		.amdhsa_exception_fp_denorm_src 0
		.amdhsa_exception_fp_ieee_div_zero 0
		.amdhsa_exception_fp_ieee_overflow 0
		.amdhsa_exception_fp_ieee_underflow 0
		.amdhsa_exception_fp_ieee_inexact 0
		.amdhsa_exception_int_div_zero 0
	.end_amdhsa_kernel
	.text
.Lfunc_end0:
	.size	bluestein_single_fwd_len550_dim1_half_op_CI_CI, .Lfunc_end0-bluestein_single_fwd_len550_dim1_half_op_CI_CI
                                        ; -- End function
	.section	.AMDGPU.csdata,"",@progbits
; Kernel info:
; codeLenInByte = 17436
; NumSgprs: 29
; NumVgprs: 107
; ScratchSize: 0
; MemoryBound: 0
; FloatMode: 240
; IeeeMode: 1
; LDSByteSize: 2200 bytes/workgroup (compile time only)
; SGPRBlocks: 3
; VGPRBlocks: 26
; NumSGPRsForWavesPerEU: 29
; NumVGPRsForWavesPerEU: 107
; Occupancy: 2
; WaveLimiterHint : 1
; COMPUTE_PGM_RSRC2:SCRATCH_EN: 0
; COMPUTE_PGM_RSRC2:USER_SGPR: 6
; COMPUTE_PGM_RSRC2:TRAP_HANDLER: 0
; COMPUTE_PGM_RSRC2:TGID_X_EN: 1
; COMPUTE_PGM_RSRC2:TGID_Y_EN: 0
; COMPUTE_PGM_RSRC2:TGID_Z_EN: 0
; COMPUTE_PGM_RSRC2:TIDIG_COMP_CNT: 0
	.type	__hip_cuid_3cebee6714b50540,@object ; @__hip_cuid_3cebee6714b50540
	.section	.bss,"aw",@nobits
	.globl	__hip_cuid_3cebee6714b50540
__hip_cuid_3cebee6714b50540:
	.byte	0                               ; 0x0
	.size	__hip_cuid_3cebee6714b50540, 1

	.ident	"AMD clang version 19.0.0git (https://github.com/RadeonOpenCompute/llvm-project roc-6.4.0 25133 c7fe45cf4b819c5991fe208aaa96edf142730f1d)"
	.section	".note.GNU-stack","",@progbits
	.addrsig
	.addrsig_sym __hip_cuid_3cebee6714b50540
	.amdgpu_metadata
---
amdhsa.kernels:
  - .args:
      - .actual_access:  read_only
        .address_space:  global
        .offset:         0
        .size:           8
        .value_kind:     global_buffer
      - .actual_access:  read_only
        .address_space:  global
        .offset:         8
        .size:           8
        .value_kind:     global_buffer
      - .actual_access:  read_only
        .address_space:  global
        .offset:         16
        .size:           8
        .value_kind:     global_buffer
      - .actual_access:  read_only
        .address_space:  global
        .offset:         24
        .size:           8
        .value_kind:     global_buffer
      - .actual_access:  read_only
        .address_space:  global
        .offset:         32
        .size:           8
        .value_kind:     global_buffer
      - .offset:         40
        .size:           8
        .value_kind:     by_value
      - .address_space:  global
        .offset:         48
        .size:           8
        .value_kind:     global_buffer
      - .address_space:  global
        .offset:         56
        .size:           8
        .value_kind:     global_buffer
      - .address_space:  global
        .offset:         64
        .size:           8
        .value_kind:     global_buffer
      - .address_space:  global
        .offset:         72
        .size:           8
        .value_kind:     global_buffer
      - .offset:         80
        .size:           4
        .value_kind:     by_value
      - .address_space:  global
        .offset:         88
        .size:           8
        .value_kind:     global_buffer
      - .address_space:  global
        .offset:         96
        .size:           8
        .value_kind:     global_buffer
    .group_segment_fixed_size: 2200
    .kernarg_segment_align: 8
    .kernarg_segment_size: 104
    .language:       OpenCL C
    .language_version:
      - 2
      - 0
    .max_flat_workgroup_size: 55
    .name:           bluestein_single_fwd_len550_dim1_half_op_CI_CI
    .private_segment_fixed_size: 0
    .sgpr_count:     29
    .sgpr_spill_count: 0
    .symbol:         bluestein_single_fwd_len550_dim1_half_op_CI_CI.kd
    .uniform_work_group_size: 1
    .uses_dynamic_stack: false
    .vgpr_count:     107
    .vgpr_spill_count: 0
    .wavefront_size: 64
amdhsa.target:   amdgcn-amd-amdhsa--gfx906
amdhsa.version:
  - 1
  - 2
...

	.end_amdgpu_metadata
